;; amdgpu-corpus repo=ROCm/rocSPARSE kind=compiled arch=gfx906 opt=O3
	.amdgcn_target "amdgcn-amd-amdhsa--gfx906"
	.amdhsa_code_object_version 6
	.section	.text._ZN9rocsparseL29bsrmm_general_blockdim_kernelILj32ELj32EiiffffEEvb20rocsparse_direction_T2_S2_llNS_24const_host_device_scalarIT6_EEPKT1_PKS2_PKT3_S2_PKT4_llS5_PT5_ll16rocsparse_order_21rocsparse_index_base_b,"axG",@progbits,_ZN9rocsparseL29bsrmm_general_blockdim_kernelILj32ELj32EiiffffEEvb20rocsparse_direction_T2_S2_llNS_24const_host_device_scalarIT6_EEPKT1_PKS2_PKT3_S2_PKT4_llS5_PT5_ll16rocsparse_order_21rocsparse_index_base_b,comdat
	.globl	_ZN9rocsparseL29bsrmm_general_blockdim_kernelILj32ELj32EiiffffEEvb20rocsparse_direction_T2_S2_llNS_24const_host_device_scalarIT6_EEPKT1_PKS2_PKT3_S2_PKT4_llS5_PT5_ll16rocsparse_order_21rocsparse_index_base_b ; -- Begin function _ZN9rocsparseL29bsrmm_general_blockdim_kernelILj32ELj32EiiffffEEvb20rocsparse_direction_T2_S2_llNS_24const_host_device_scalarIT6_EEPKT1_PKS2_PKT3_S2_PKT4_llS5_PT5_ll16rocsparse_order_21rocsparse_index_base_b
	.p2align	8
	.type	_ZN9rocsparseL29bsrmm_general_blockdim_kernelILj32ELj32EiiffffEEvb20rocsparse_direction_T2_S2_llNS_24const_host_device_scalarIT6_EEPKT1_PKS2_PKT3_S2_PKT4_llS5_PT5_ll16rocsparse_order_21rocsparse_index_base_b,@function
_ZN9rocsparseL29bsrmm_general_blockdim_kernelILj32ELj32EiiffffEEvb20rocsparse_direction_T2_S2_llNS_24const_host_device_scalarIT6_EEPKT1_PKS2_PKT3_S2_PKT4_llS5_PT5_ll16rocsparse_order_21rocsparse_index_base_b: ; @_ZN9rocsparseL29bsrmm_general_blockdim_kernelILj32ELj32EiiffffEEvb20rocsparse_direction_T2_S2_llNS_24const_host_device_scalarIT6_EEPKT1_PKS2_PKT3_S2_PKT4_llS5_PT5_ll16rocsparse_order_21rocsparse_index_base_b
; %bb.0:
	s_load_dwordx4 s[8:11], s[4:5], 0x80
	s_mov_b32 s0, s7
	s_waitcnt lgkmcnt(0)
	s_bitcmp1_b32 s10, 0
	s_load_dwordx2 s[10:11], s[4:5], 0x20
	s_load_dwordx2 s[28:29], s[4:5], 0x60
	s_cselect_b64 s[12:13], -1, 0
	s_xor_b64 s[2:3], s[12:13], -1
	s_and_b64 vcc, exec, s[12:13]
	s_cbranch_vccnz .LBB0_2
; %bb.1:
	s_waitcnt lgkmcnt(0)
	s_load_dword s10, s[10:11], 0x0
.LBB0_2:
	s_andn2_b64 vcc, exec, s[2:3]
	s_cbranch_vccnz .LBB0_4
; %bb.3:
	s_waitcnt lgkmcnt(0)
	s_load_dword s28, s[28:29], 0x0
.LBB0_4:
	s_waitcnt lgkmcnt(0)
	v_cmp_eq_f32_e64 s[2:3], s10, 0
	v_cmp_eq_f32_e64 s[12:13], s28, 1.0
	s_and_b64 s[2:3], s[2:3], s[12:13]
	s_mov_b32 s11, 0
	s_and_b64 vcc, exec, s[2:3]
	s_cbranch_vccnz .LBB0_55
; %bb.5:
	s_load_dwordx4 s[24:27], s[4:5], 0x0
	s_load_dwordx2 s[12:13], s[4:5], 0x28
	s_waitcnt lgkmcnt(0)
	s_cmp_lt_i32 s6, s26
	s_cselect_b64 s[2:3], -1, 0
	s_cmp_ge_i32 s6, s26
	s_cbranch_scc0 .LBB0_8
; %bb.6:
	s_andn2_b64 vcc, exec, s[2:3]
	s_mov_b32 s29, 0
	s_cbranch_vccz .LBB0_9
.LBB0_7:
	s_load_dword s33, s[4:5], 0x40
	s_waitcnt lgkmcnt(0)
	s_cmp_lt_i32 s33, 1
	s_cbranch_scc0 .LBB0_10
	s_branch .LBB0_55
.LBB0_8:
	s_ashr_i32 s7, s6, 31
	s_lshl_b64 s[14:15], s[6:7], 2
	s_add_u32 s14, s12, s14
	s_addc_u32 s15, s13, s15
	s_load_dword s1, s[14:15], 0x0
	s_waitcnt lgkmcnt(0)
	s_sub_i32 s11, s1, s9
	s_andn2_b64 vcc, exec, s[2:3]
	s_mov_b32 s29, 0
	s_cbranch_vccnz .LBB0_7
.LBB0_9:
	s_ashr_i32 s7, s6, 31
	s_lshl_b64 s[14:15], s[6:7], 2
	s_add_u32 s12, s12, s14
	s_addc_u32 s13, s13, s15
	s_load_dword s1, s[12:13], 0x4
	s_waitcnt lgkmcnt(0)
	s_sub_i32 s29, s1, s9
	s_load_dword s33, s[4:5], 0x40
	s_waitcnt lgkmcnt(0)
	s_cmp_lt_i32 s33, 1
	s_cbranch_scc1 .LBB0_55
.LBB0_10:
	s_load_dwordx4 s[12:15], s[4:5], 0x68
	s_load_dwordx4 s[16:19], s[4:5], 0x30
	s_load_dwordx4 s[20:23], s[4:5], 0x48
	v_lshl_add_u32 v2, s0, 5, v1
	v_ashrrev_i32_e32 v3, 31, v2
	s_mul_i32 s42, s33, s6
	s_bitcmp1_b32 s24, 0
	s_waitcnt lgkmcnt(0)
	v_mul_lo_u32 v12, s22, v3
	v_mul_lo_u32 v13, s23, v2
	v_mad_u64_u32 v[10:11], s[6:7], s22, v2, 0
	s_cselect_b64 s[4:5], -1, 0
	v_lshlrev_b64 v[4:5], 2, v[2:3]
	s_xor_b64 s[30:31], s[4:5], -1
	v_add3_u32 v11, v11, v12, v13
	s_cmp_lt_i32 s11, s29
	v_mov_b32_e32 v8, s21
	v_add_co_u32_e32 v7, vcc, s20, v4
	v_lshlrev_b64 v[10:11], 2, v[10:11]
	s_cselect_b64 s[4:5], -1, 0
	v_cmp_gt_i32_e64 s[0:1], s27, v2
	v_addc_co_u32_e32 v8, vcc, v8, v5, vcc
	s_cmp_lg_u32 s25, 0
	v_mov_b32_e32 v12, s21
	v_add_co_u32_e32 v10, vcc, s20, v10
	s_cselect_b64 s[6:7], -1, 0
	s_and_b64 s[20:21], s[2:3], s[0:1]
	v_mul_lo_u32 v14, s14, v3
	v_mul_lo_u32 v15, s15, v2
	v_mad_u64_u32 v[2:3], s[2:3], s14, v2, 0
	v_addc_co_u32_e32 v11, vcc, v12, v11, vcc
	v_add3_u32 v3, v3, v14, v15
	v_mov_b32_e32 v13, s13
	v_add_co_u32_e32 v12, vcc, s12, v4
	v_lshlrev_b64 v[2:3], 2, v[2:3]
	v_addc_co_u32_e32 v13, vcc, v13, v5, vcc
	s_mul_i32 s2, s11, s33
	v_mov_b32_e32 v4, s13
	v_add_co_u32_e32 v14, vcc, s12, v2
	v_add_u32_e32 v2, s2, v0
	v_addc_co_u32_e32 v15, vcc, v4, v3, vcc
	v_mad_u64_u32 v[2:3], s[2:3], s33, v2, v[1:2]
	v_lshlrev_b32_e32 v6, 2, v0
	v_or_b32_e32 v16, 0x1000, v6
	v_lshlrev_b32_e32 v9, 7, v1
	s_cmp_lg_u32 s8, 1
	v_cndmask_b32_e64 v3, 0, 1, s[4:5]
	s_mov_b32 s43, 0
	v_cmp_neq_f32_e64 s[24:25], s28, 0
	s_cselect_b64 s[26:27], -1, 0
	s_lshl_b32 s8, s33, 5
	s_mul_i32 s44, s33, s33
	v_cmp_ne_u32_e64 s[2:3], 1, v3
	v_add_u32_e32 v16, v16, v9
	s_branch .LBB0_12
.LBB0_11:                               ;   in Loop: Header=BB0_12 Depth=1
	s_or_b64 exec, exec, s[4:5]
	s_add_i32 s43, s43, 32
	s_cmp_lt_i32 s43, s33
	v_add_u32_e32 v2, s8, v2
	s_cbranch_scc0 .LBB0_55
.LBB0_12:                               ; =>This Loop Header: Depth=1
                                        ;     Child Loop BB0_15 Depth 2
                                        ;       Child Loop BB0_17 Depth 3
	v_add_u32_e32 v3, s43, v0
	v_mov_b32_e32 v17, 0
	s_and_b64 vcc, exec, s[2:3]
	v_cmp_gt_i32_e64 s[4:5], s33, v3
	s_cbranch_vccnz .LBB0_43
; %bb.13:                               ;   in Loop: Header=BB0_12 Depth=1
	v_mov_b32_e32 v17, 0
	v_mov_b32_e32 v18, v2
	s_mov_b32 s12, s11
	s_branch .LBB0_15
.LBB0_14:                               ;   in Loop: Header=BB0_15 Depth=2
	s_add_i32 s12, s12, 1
	s_cmp_ge_i32 s12, s29
	v_add_u32_e32 v18, s44, v18
	s_cbranch_scc1 .LBB0_43
.LBB0_15:                               ;   Parent Loop BB0_12 Depth=1
                                        ; =>  This Loop Header: Depth=2
                                        ;       Child Loop BB0_17 Depth 3
	s_ashr_i32 s13, s12, 31
	s_lshl_b64 s[34:35], s[12:13], 2
	s_add_u32 s34, s16, s34
	s_addc_u32 s35, s17, s35
	s_load_dword s34, s[34:35], 0x0
	s_mul_i32 s13, s12, s33
	s_mov_b32 s45, 0
	s_waitcnt lgkmcnt(0)
	s_sub_i32 s34, s34, s9
	s_mul_i32 s34, s34, s33
	v_add_u32_e32 v19, s34, v0
	s_branch .LBB0_17
.LBB0_16:                               ;   in Loop: Header=BB0_17 Depth=3
	s_or_b64 exec, exec, s[36:37]
	v_add_u32_e32 v4, v6, v9
	s_waitcnt vmcnt(0)
	ds_write_b32 v4, v5
	s_waitcnt lgkmcnt(0)
	s_barrier
	ds_read2_b32 v[4:5], v6 offset1:32
	ds_read_b128 v[20:23], v9 offset:4096
	ds_read_b128 v[24:27], v9 offset:4112
	ds_read2_b32 v[36:37], v6 offset0:64 offset1:96
	ds_read_b128 v[28:31], v9 offset:4128
	ds_read_b128 v[32:35], v9 offset:4144
	ds_read2_b32 v[38:39], v6 offset0:128 offset1:160
	s_waitcnt lgkmcnt(5)
	v_fmac_f32_e32 v17, v4, v20
	v_fmac_f32_e32 v17, v5, v21
	ds_read2_b32 v[4:5], v6 offset0:192 offset1:224
	s_waitcnt lgkmcnt(4)
	v_fmac_f32_e32 v17, v36, v22
	v_fmac_f32_e32 v17, v37, v23
	s_waitcnt lgkmcnt(1)
	v_fmac_f32_e32 v17, v38, v24
	v_add_u32_e32 v24, 0x400, v6
	ds_read2_b32 v[20:21], v24 offset1:32
	v_fmac_f32_e32 v17, v39, v25
	s_waitcnt lgkmcnt(1)
	v_fmac_f32_e32 v17, v4, v26
	v_fmac_f32_e32 v17, v5, v27
	ds_read2_b32 v[4:5], v24 offset0:64 offset1:96
	ds_read2_b32 v[22:23], v24 offset0:128 offset1:160
	s_waitcnt lgkmcnt(2)
	v_fmac_f32_e32 v17, v20, v28
	v_fmac_f32_e32 v17, v21, v29
	ds_read2_b32 v[24:25], v24 offset0:192 offset1:224
	s_waitcnt lgkmcnt(2)
	v_fmac_f32_e32 v17, v4, v30
	v_fmac_f32_e32 v17, v5, v31
	s_waitcnt lgkmcnt(1)
	v_fmac_f32_e32 v17, v22, v32
	v_add_u32_e32 v32, 0x800, v6
	v_fmac_f32_e32 v17, v23, v33
	ds_read2_b32 v[4:5], v32 offset1:32
	ds_read_b128 v[20:23], v9 offset:4160
	s_waitcnt lgkmcnt(2)
	v_fmac_f32_e32 v17, v24, v34
	v_fmac_f32_e32 v17, v25, v35
	ds_read2_b32 v[28:29], v32 offset0:64 offset1:96
	ds_read2_b32 v[30:31], v32 offset0:128 offset1:160
	ds_read_b128 v[24:27], v9 offset:4176
	s_add_i32 s45, s45, 32
	s_waitcnt lgkmcnt(3)
	v_fmac_f32_e32 v17, v4, v20
	v_fmac_f32_e32 v17, v5, v21
	ds_read2_b32 v[4:5], v32 offset0:192 offset1:224
	s_waitcnt lgkmcnt(3)
	v_fmac_f32_e32 v17, v28, v22
	v_fmac_f32_e32 v17, v29, v23
	v_add_u32_e32 v32, 0xc00, v6
	s_waitcnt lgkmcnt(1)
	v_fmac_f32_e32 v17, v30, v24
	ds_read2_b32 v[28:29], v32 offset1:32
	ds_read_b128 v[20:23], v9 offset:4192
	v_fmac_f32_e32 v17, v31, v25
	s_waitcnt lgkmcnt(2)
	v_fmac_f32_e32 v17, v4, v26
	v_fmac_f32_e32 v17, v5, v27
	ds_read2_b32 v[4:5], v32 offset0:64 offset1:96
	ds_read_b128 v[24:27], v9 offset:4208
	ds_read2_b32 v[30:31], v32 offset0:128 offset1:160
	s_waitcnt lgkmcnt(3)
	v_fmac_f32_e32 v17, v28, v20
	v_fmac_f32_e32 v17, v29, v21
	ds_read2_b32 v[20:21], v32 offset0:192 offset1:224
	s_waitcnt lgkmcnt(3)
	v_fmac_f32_e32 v17, v4, v22
	v_fmac_f32_e32 v17, v5, v23
	s_waitcnt lgkmcnt(1)
	v_fmac_f32_e32 v17, v30, v24
	v_fmac_f32_e32 v17, v31, v25
	;; [unrolled: 3-line block ×3, first 2 shown]
	s_cmp_ge_i32 s45, s33
	s_barrier
	s_cbranch_scc1 .LBB0_14
.LBB0_17:                               ;   Parent Loop BB0_12 Depth=1
                                        ;     Parent Loop BB0_15 Depth=2
                                        ; =>    This Inner Loop Header: Depth=3
	s_mov_b64 s[34:35], -1
	s_and_b64 vcc, exec, s[30:31]
                                        ; implicit-def: $vgpr4
	s_cbranch_vccnz .LBB0_26
; %bb.18:                               ;   in Loop: Header=BB0_17 Depth=3
	s_andn2_b64 vcc, exec, s[34:35]
	s_cbranch_vccz .LBB0_31
.LBB0_19:                               ;   in Loop: Header=BB0_17 Depth=3
	s_and_b64 vcc, exec, s[6:7]
	s_waitcnt vmcnt(0)
	ds_write_b32 v16, v4
	s_cbranch_vccz .LBB0_36
.LBB0_20:                               ;   in Loop: Header=BB0_17 Depth=3
	s_mov_b64 s[36:37], 0
	s_mov_b64 s[34:35], 0
                                        ; implicit-def: $vgpr4
	s_and_saveexec_b64 s[38:39], s[4:5]
	s_cbranch_execz .LBB0_24
; %bb.21:                               ;   in Loop: Header=BB0_17 Depth=3
	v_add_u32_e32 v5, s45, v1
	v_cmp_gt_i32_e32 vcc, s33, v5
                                        ; implicit-def: $vgpr4
	s_and_saveexec_b64 s[40:41], vcc
	s_xor_b64 s[40:41], exec, s[40:41]
; %bb.22:                               ;   in Loop: Header=BB0_17 Depth=3
	v_add_u32_e32 v4, s13, v5
	s_mov_b64 s[34:35], exec
	v_mad_u64_u32 v[4:5], s[46:47], v4, s33, v[3:4]
; %bb.23:                               ;   in Loop: Header=BB0_17 Depth=3
	s_or_b64 exec, exec, s[40:41]
	s_and_b64 s[34:35], s[34:35], exec
.LBB0_24:                               ;   in Loop: Header=BB0_17 Depth=3
	s_or_b64 exec, exec, s[38:39]
	s_and_b64 vcc, exec, s[36:37]
	s_cbranch_vccnz .LBB0_37
.LBB0_25:                               ;   in Loop: Header=BB0_17 Depth=3
	v_mov_b32_e32 v5, 0
	s_and_saveexec_b64 s[36:37], s[34:35]
	s_cbranch_execz .LBB0_16
	s_branch .LBB0_42
.LBB0_26:                               ;   in Loop: Header=BB0_17 Depth=3
	v_mov_b32_e32 v4, 0
	s_and_saveexec_b64 s[34:35], s[0:1]
	s_cbranch_execz .LBB0_30
; %bb.27:                               ;   in Loop: Header=BB0_17 Depth=3
	v_add_u32_e32 v4, s45, v0
	v_cmp_gt_i32_e32 vcc, s33, v4
	v_mov_b32_e32 v4, 0
	s_and_saveexec_b64 s[36:37], vcc
	s_cbranch_execz .LBB0_29
; %bb.28:                               ;   in Loop: Header=BB0_17 Depth=3
	v_add_u32_e32 v4, s45, v19
	v_ashrrev_i32_e32 v20, 31, v4
	v_mul_lo_u32 v21, s23, v4
	v_mad_u64_u32 v[4:5], s[38:39], s22, v4, 0
	v_mul_lo_u32 v20, s22, v20
	v_add3_u32 v5, v5, v20, v21
	v_lshlrev_b64 v[4:5], 2, v[4:5]
	v_add_co_u32_e32 v4, vcc, v7, v4
	v_addc_co_u32_e32 v5, vcc, v8, v5, vcc
	global_load_dword v4, v[4:5], off
.LBB0_29:                               ;   in Loop: Header=BB0_17 Depth=3
	s_or_b64 exec, exec, s[36:37]
.LBB0_30:                               ;   in Loop: Header=BB0_17 Depth=3
	s_or_b64 exec, exec, s[34:35]
	s_cbranch_execnz .LBB0_19
.LBB0_31:                               ;   in Loop: Header=BB0_17 Depth=3
	s_waitcnt vmcnt(0)
	v_mov_b32_e32 v4, 0
	s_and_saveexec_b64 s[34:35], s[0:1]
	s_cbranch_execz .LBB0_35
; %bb.32:                               ;   in Loop: Header=BB0_17 Depth=3
	v_add_u32_e32 v4, s45, v0
	v_cmp_gt_i32_e32 vcc, s33, v4
	v_mov_b32_e32 v4, 0
	s_and_saveexec_b64 s[36:37], vcc
	s_cbranch_execz .LBB0_34
; %bb.33:                               ;   in Loop: Header=BB0_17 Depth=3
	v_add_u32_e32 v4, s45, v19
	v_ashrrev_i32_e32 v5, 31, v4
	v_lshlrev_b64 v[4:5], 2, v[4:5]
	v_add_co_u32_e32 v4, vcc, v10, v4
	v_addc_co_u32_e32 v5, vcc, v11, v5, vcc
	global_load_dword v4, v[4:5], off
.LBB0_34:                               ;   in Loop: Header=BB0_17 Depth=3
	s_or_b64 exec, exec, s[36:37]
.LBB0_35:                               ;   in Loop: Header=BB0_17 Depth=3
	s_or_b64 exec, exec, s[34:35]
	s_and_b64 vcc, exec, s[6:7]
	s_waitcnt vmcnt(0)
	ds_write_b32 v16, v4
	s_cbranch_vccnz .LBB0_20
.LBB0_36:                               ;   in Loop: Header=BB0_17 Depth=3
	s_mov_b64 s[34:35], 0
                                        ; implicit-def: $vgpr4
	s_cbranch_execz .LBB0_25
.LBB0_37:                               ;   in Loop: Header=BB0_17 Depth=3
                                        ; implicit-def: $vgpr4
	s_and_saveexec_b64 s[36:37], s[4:5]
	s_cbranch_execz .LBB0_41
; %bb.38:                               ;   in Loop: Header=BB0_17 Depth=3
	v_add_u32_e32 v4, s45, v1
	v_cmp_gt_i32_e32 vcc, s33, v4
	s_mov_b64 s[38:39], s[34:35]
                                        ; implicit-def: $vgpr4
	s_and_saveexec_b64 s[40:41], vcc
; %bb.39:                               ;   in Loop: Header=BB0_17 Depth=3
	v_add_u32_e32 v4, s45, v18
	s_or_b64 s[38:39], s[34:35], exec
; %bb.40:                               ;   in Loop: Header=BB0_17 Depth=3
	s_or_b64 exec, exec, s[40:41]
	s_andn2_b64 s[34:35], s[34:35], exec
	s_and_b64 s[38:39], s[38:39], exec
	s_or_b64 s[34:35], s[34:35], s[38:39]
.LBB0_41:                               ;   in Loop: Header=BB0_17 Depth=3
	s_or_b64 exec, exec, s[36:37]
	v_mov_b32_e32 v5, 0
	s_and_saveexec_b64 s[36:37], s[34:35]
	s_cbranch_execz .LBB0_16
.LBB0_42:                               ;   in Loop: Header=BB0_17 Depth=3
	v_ashrrev_i32_e32 v5, 31, v4
	v_lshlrev_b64 v[4:5], 2, v[4:5]
	v_mov_b32_e32 v20, s19
	v_add_co_u32_e32 v4, vcc, s18, v4
	v_addc_co_u32_e32 v5, vcc, v20, v5, vcc
	global_load_dword v5, v[4:5], off
	s_branch .LBB0_16
.LBB0_43:                               ;   in Loop: Header=BB0_12 Depth=1
	v_cmp_gt_i32_e32 vcc, s33, v3
	s_and_b64 s[12:13], s[20:21], vcc
	s_and_saveexec_b64 s[4:5], s[12:13]
	s_cbranch_execz .LBB0_11
; %bb.44:                               ;   in Loop: Header=BB0_12 Depth=1
	v_add_u32_e32 v3, s42, v3
	s_and_b64 vcc, exec, s[24:25]
	v_ashrrev_i32_e32 v4, 31, v3
	s_mov_b64 s[12:13], -1
	s_cbranch_vccz .LBB0_50
; %bb.45:                               ;   in Loop: Header=BB0_12 Depth=1
	s_and_b64 vcc, exec, s[26:27]
	s_cbranch_vccz .LBB0_47
; %bb.46:                               ;   in Loop: Header=BB0_12 Depth=1
	v_mul_lo_u32 v5, s15, v3
	v_mul_lo_u32 v20, s14, v4
	v_mad_u64_u32 v[18:19], s[12:13], s14, v3, 0
	s_mov_b64 s[12:13], 0
	v_add3_u32 v19, v19, v20, v5
	v_lshlrev_b64 v[18:19], 2, v[18:19]
	v_mul_f32_e32 v20, s10, v17
	v_add_co_u32_e32 v18, vcc, v12, v18
	v_addc_co_u32_e32 v19, vcc, v13, v19, vcc
	global_load_dword v5, v[18:19], off
	s_waitcnt vmcnt(0)
	v_fmac_f32_e32 v20, s28, v5
	global_store_dword v[18:19], v20, off
.LBB0_47:                               ;   in Loop: Header=BB0_12 Depth=1
	s_andn2_b64 vcc, exec, s[12:13]
	s_cbranch_vccnz .LBB0_49
; %bb.48:                               ;   in Loop: Header=BB0_12 Depth=1
	v_lshlrev_b64 v[18:19], 2, v[3:4]
	v_mul_f32_e32 v20, s10, v17
	v_add_co_u32_e32 v18, vcc, v14, v18
	v_addc_co_u32_e32 v19, vcc, v15, v19, vcc
	global_load_dword v5, v[18:19], off
	s_waitcnt vmcnt(0)
	v_fmac_f32_e32 v20, s28, v5
	global_store_dword v[18:19], v20, off
.LBB0_49:                               ;   in Loop: Header=BB0_12 Depth=1
	s_mov_b64 s[12:13], 0
.LBB0_50:                               ;   in Loop: Header=BB0_12 Depth=1
	s_andn2_b64 vcc, exec, s[12:13]
	s_cbranch_vccnz .LBB0_11
; %bb.51:                               ;   in Loop: Header=BB0_12 Depth=1
	v_mul_f32_e32 v5, s10, v17
	s_mov_b64 s[12:13], -1
	s_and_b64 vcc, exec, s[26:27]
	s_cbranch_vccz .LBB0_53
; %bb.52:                               ;   in Loop: Header=BB0_12 Depth=1
	v_mul_lo_u32 v19, s15, v3
	v_mul_lo_u32 v20, s14, v4
	v_mad_u64_u32 v[17:18], s[12:13], s14, v3, 0
	s_mov_b64 s[12:13], 0
	v_add3_u32 v18, v18, v20, v19
	v_lshlrev_b64 v[17:18], 2, v[17:18]
	v_add_co_u32_e32 v17, vcc, v12, v17
	v_addc_co_u32_e32 v18, vcc, v13, v18, vcc
	global_store_dword v[17:18], v5, off
.LBB0_53:                               ;   in Loop: Header=BB0_12 Depth=1
	s_andn2_b64 vcc, exec, s[12:13]
	s_cbranch_vccnz .LBB0_11
; %bb.54:                               ;   in Loop: Header=BB0_12 Depth=1
	v_lshlrev_b64 v[3:4], 2, v[3:4]
	v_add_co_u32_e32 v3, vcc, v14, v3
	v_addc_co_u32_e32 v4, vcc, v15, v4, vcc
	global_store_dword v[3:4], v5, off
	s_branch .LBB0_11
.LBB0_55:
	s_endpgm
	.section	.rodata,"a",@progbits
	.p2align	6, 0x0
	.amdhsa_kernel _ZN9rocsparseL29bsrmm_general_blockdim_kernelILj32ELj32EiiffffEEvb20rocsparse_direction_T2_S2_llNS_24const_host_device_scalarIT6_EEPKT1_PKS2_PKT3_S2_PKT4_llS5_PT5_ll16rocsparse_order_21rocsparse_index_base_b
		.amdhsa_group_segment_fixed_size 8192
		.amdhsa_private_segment_fixed_size 0
		.amdhsa_kernarg_size 140
		.amdhsa_user_sgpr_count 6
		.amdhsa_user_sgpr_private_segment_buffer 1
		.amdhsa_user_sgpr_dispatch_ptr 0
		.amdhsa_user_sgpr_queue_ptr 0
		.amdhsa_user_sgpr_kernarg_segment_ptr 1
		.amdhsa_user_sgpr_dispatch_id 0
		.amdhsa_user_sgpr_flat_scratch_init 0
		.amdhsa_user_sgpr_private_segment_size 0
		.amdhsa_uses_dynamic_stack 0
		.amdhsa_system_sgpr_private_segment_wavefront_offset 0
		.amdhsa_system_sgpr_workgroup_id_x 1
		.amdhsa_system_sgpr_workgroup_id_y 1
		.amdhsa_system_sgpr_workgroup_id_z 0
		.amdhsa_system_sgpr_workgroup_info 0
		.amdhsa_system_vgpr_workitem_id 1
		.amdhsa_next_free_vgpr 40
		.amdhsa_next_free_sgpr 61
		.amdhsa_reserve_vcc 1
		.amdhsa_reserve_flat_scratch 0
		.amdhsa_float_round_mode_32 0
		.amdhsa_float_round_mode_16_64 0
		.amdhsa_float_denorm_mode_32 3
		.amdhsa_float_denorm_mode_16_64 3
		.amdhsa_dx10_clamp 1
		.amdhsa_ieee_mode 1
		.amdhsa_fp16_overflow 0
		.amdhsa_exception_fp_ieee_invalid_op 0
		.amdhsa_exception_fp_denorm_src 0
		.amdhsa_exception_fp_ieee_div_zero 0
		.amdhsa_exception_fp_ieee_overflow 0
		.amdhsa_exception_fp_ieee_underflow 0
		.amdhsa_exception_fp_ieee_inexact 0
		.amdhsa_exception_int_div_zero 0
	.end_amdhsa_kernel
	.section	.text._ZN9rocsparseL29bsrmm_general_blockdim_kernelILj32ELj32EiiffffEEvb20rocsparse_direction_T2_S2_llNS_24const_host_device_scalarIT6_EEPKT1_PKS2_PKT3_S2_PKT4_llS5_PT5_ll16rocsparse_order_21rocsparse_index_base_b,"axG",@progbits,_ZN9rocsparseL29bsrmm_general_blockdim_kernelILj32ELj32EiiffffEEvb20rocsparse_direction_T2_S2_llNS_24const_host_device_scalarIT6_EEPKT1_PKS2_PKT3_S2_PKT4_llS5_PT5_ll16rocsparse_order_21rocsparse_index_base_b,comdat
.Lfunc_end0:
	.size	_ZN9rocsparseL29bsrmm_general_blockdim_kernelILj32ELj32EiiffffEEvb20rocsparse_direction_T2_S2_llNS_24const_host_device_scalarIT6_EEPKT1_PKS2_PKT3_S2_PKT4_llS5_PT5_ll16rocsparse_order_21rocsparse_index_base_b, .Lfunc_end0-_ZN9rocsparseL29bsrmm_general_blockdim_kernelILj32ELj32EiiffffEEvb20rocsparse_direction_T2_S2_llNS_24const_host_device_scalarIT6_EEPKT1_PKS2_PKT3_S2_PKT4_llS5_PT5_ll16rocsparse_order_21rocsparse_index_base_b
                                        ; -- End function
	.set _ZN9rocsparseL29bsrmm_general_blockdim_kernelILj32ELj32EiiffffEEvb20rocsparse_direction_T2_S2_llNS_24const_host_device_scalarIT6_EEPKT1_PKS2_PKT3_S2_PKT4_llS5_PT5_ll16rocsparse_order_21rocsparse_index_base_b.num_vgpr, 40
	.set _ZN9rocsparseL29bsrmm_general_blockdim_kernelILj32ELj32EiiffffEEvb20rocsparse_direction_T2_S2_llNS_24const_host_device_scalarIT6_EEPKT1_PKS2_PKT3_S2_PKT4_llS5_PT5_ll16rocsparse_order_21rocsparse_index_base_b.num_agpr, 0
	.set _ZN9rocsparseL29bsrmm_general_blockdim_kernelILj32ELj32EiiffffEEvb20rocsparse_direction_T2_S2_llNS_24const_host_device_scalarIT6_EEPKT1_PKS2_PKT3_S2_PKT4_llS5_PT5_ll16rocsparse_order_21rocsparse_index_base_b.numbered_sgpr, 48
	.set _ZN9rocsparseL29bsrmm_general_blockdim_kernelILj32ELj32EiiffffEEvb20rocsparse_direction_T2_S2_llNS_24const_host_device_scalarIT6_EEPKT1_PKS2_PKT3_S2_PKT4_llS5_PT5_ll16rocsparse_order_21rocsparse_index_base_b.num_named_barrier, 0
	.set _ZN9rocsparseL29bsrmm_general_blockdim_kernelILj32ELj32EiiffffEEvb20rocsparse_direction_T2_S2_llNS_24const_host_device_scalarIT6_EEPKT1_PKS2_PKT3_S2_PKT4_llS5_PT5_ll16rocsparse_order_21rocsparse_index_base_b.private_seg_size, 0
	.set _ZN9rocsparseL29bsrmm_general_blockdim_kernelILj32ELj32EiiffffEEvb20rocsparse_direction_T2_S2_llNS_24const_host_device_scalarIT6_EEPKT1_PKS2_PKT3_S2_PKT4_llS5_PT5_ll16rocsparse_order_21rocsparse_index_base_b.uses_vcc, 1
	.set _ZN9rocsparseL29bsrmm_general_blockdim_kernelILj32ELj32EiiffffEEvb20rocsparse_direction_T2_S2_llNS_24const_host_device_scalarIT6_EEPKT1_PKS2_PKT3_S2_PKT4_llS5_PT5_ll16rocsparse_order_21rocsparse_index_base_b.uses_flat_scratch, 0
	.set _ZN9rocsparseL29bsrmm_general_blockdim_kernelILj32ELj32EiiffffEEvb20rocsparse_direction_T2_S2_llNS_24const_host_device_scalarIT6_EEPKT1_PKS2_PKT3_S2_PKT4_llS5_PT5_ll16rocsparse_order_21rocsparse_index_base_b.has_dyn_sized_stack, 0
	.set _ZN9rocsparseL29bsrmm_general_blockdim_kernelILj32ELj32EiiffffEEvb20rocsparse_direction_T2_S2_llNS_24const_host_device_scalarIT6_EEPKT1_PKS2_PKT3_S2_PKT4_llS5_PT5_ll16rocsparse_order_21rocsparse_index_base_b.has_recursion, 0
	.set _ZN9rocsparseL29bsrmm_general_blockdim_kernelILj32ELj32EiiffffEEvb20rocsparse_direction_T2_S2_llNS_24const_host_device_scalarIT6_EEPKT1_PKS2_PKT3_S2_PKT4_llS5_PT5_ll16rocsparse_order_21rocsparse_index_base_b.has_indirect_call, 0
	.section	.AMDGPU.csdata,"",@progbits
; Kernel info:
; codeLenInByte = 1912
; TotalNumSgprs: 52
; NumVgprs: 40
; ScratchSize: 0
; MemoryBound: 0
; FloatMode: 240
; IeeeMode: 1
; LDSByteSize: 8192 bytes/workgroup (compile time only)
; SGPRBlocks: 8
; VGPRBlocks: 9
; NumSGPRsForWavesPerEU: 65
; NumVGPRsForWavesPerEU: 40
; Occupancy: 6
; WaveLimiterHint : 1
; COMPUTE_PGM_RSRC2:SCRATCH_EN: 0
; COMPUTE_PGM_RSRC2:USER_SGPR: 6
; COMPUTE_PGM_RSRC2:TRAP_HANDLER: 0
; COMPUTE_PGM_RSRC2:TGID_X_EN: 1
; COMPUTE_PGM_RSRC2:TGID_Y_EN: 1
; COMPUTE_PGM_RSRC2:TGID_Z_EN: 0
; COMPUTE_PGM_RSRC2:TIDIG_COMP_CNT: 1
	.section	.text._ZN9rocsparseL29bsrmm_general_blockdim_kernelILj32ELj32EliffffEEvb20rocsparse_direction_T2_S2_llNS_24const_host_device_scalarIT6_EEPKT1_PKS2_PKT3_S2_PKT4_llS5_PT5_ll16rocsparse_order_21rocsparse_index_base_b,"axG",@progbits,_ZN9rocsparseL29bsrmm_general_blockdim_kernelILj32ELj32EliffffEEvb20rocsparse_direction_T2_S2_llNS_24const_host_device_scalarIT6_EEPKT1_PKS2_PKT3_S2_PKT4_llS5_PT5_ll16rocsparse_order_21rocsparse_index_base_b,comdat
	.globl	_ZN9rocsparseL29bsrmm_general_blockdim_kernelILj32ELj32EliffffEEvb20rocsparse_direction_T2_S2_llNS_24const_host_device_scalarIT6_EEPKT1_PKS2_PKT3_S2_PKT4_llS5_PT5_ll16rocsparse_order_21rocsparse_index_base_b ; -- Begin function _ZN9rocsparseL29bsrmm_general_blockdim_kernelILj32ELj32EliffffEEvb20rocsparse_direction_T2_S2_llNS_24const_host_device_scalarIT6_EEPKT1_PKS2_PKT3_S2_PKT4_llS5_PT5_ll16rocsparse_order_21rocsparse_index_base_b
	.p2align	8
	.type	_ZN9rocsparseL29bsrmm_general_blockdim_kernelILj32ELj32EliffffEEvb20rocsparse_direction_T2_S2_llNS_24const_host_device_scalarIT6_EEPKT1_PKS2_PKT3_S2_PKT4_llS5_PT5_ll16rocsparse_order_21rocsparse_index_base_b,@function
_ZN9rocsparseL29bsrmm_general_blockdim_kernelILj32ELj32EliffffEEvb20rocsparse_direction_T2_S2_llNS_24const_host_device_scalarIT6_EEPKT1_PKS2_PKT3_S2_PKT4_llS5_PT5_ll16rocsparse_order_21rocsparse_index_base_b: ; @_ZN9rocsparseL29bsrmm_general_blockdim_kernelILj32ELj32EliffffEEvb20rocsparse_direction_T2_S2_llNS_24const_host_device_scalarIT6_EEPKT1_PKS2_PKT3_S2_PKT4_llS5_PT5_ll16rocsparse_order_21rocsparse_index_base_b
; %bb.0:
	s_load_dwordx4 s[8:11], s[4:5], 0x80
	s_mov_b32 s0, s7
	s_waitcnt lgkmcnt(0)
	s_bitcmp1_b32 s10, 0
	s_load_dwordx2 s[10:11], s[4:5], 0x20
	s_load_dwordx2 s[28:29], s[4:5], 0x60
	s_cselect_b64 s[12:13], -1, 0
	s_xor_b64 s[2:3], s[12:13], -1
	s_and_b64 vcc, exec, s[12:13]
	s_cbranch_vccnz .LBB1_2
; %bb.1:
	s_waitcnt lgkmcnt(0)
	s_load_dword s10, s[10:11], 0x0
.LBB1_2:
	s_andn2_b64 vcc, exec, s[2:3]
	s_cbranch_vccnz .LBB1_4
; %bb.3:
	s_waitcnt lgkmcnt(0)
	s_load_dword s28, s[28:29], 0x0
.LBB1_4:
	s_waitcnt lgkmcnt(0)
	v_cmp_eq_f32_e64 s[2:3], s10, 0
	v_cmp_eq_f32_e64 s[12:13], s28, 1.0
	s_and_b64 s[2:3], s[2:3], s[12:13]
	s_and_b64 vcc, exec, s[2:3]
	s_cbranch_vccnz .LBB1_51
; %bb.5:
	s_load_dwordx4 s[24:27], s[4:5], 0x0
	s_load_dwordx2 s[12:13], s[4:5], 0x28
	s_mov_b64 s[30:31], 0
	s_mov_b64 s[34:35], 0
	s_waitcnt lgkmcnt(0)
	s_cmp_lt_i32 s6, s26
	s_cselect_b64 s[2:3], -1, 0
	s_cmp_ge_i32 s6, s26
	s_cbranch_scc0 .LBB1_8
; %bb.6:
	s_andn2_b64 vcc, exec, s[2:3]
	s_cbranch_vccz .LBB1_9
.LBB1_7:
	s_load_dword s11, s[4:5], 0x40
	s_waitcnt lgkmcnt(0)
	s_cmp_lt_i32 s11, 1
	s_cbranch_scc0 .LBB1_10
	s_branch .LBB1_51
.LBB1_8:
	s_ashr_i32 s7, s6, 31
	s_lshl_b64 s[14:15], s[6:7], 3
	s_add_u32 s14, s12, s14
	s_addc_u32 s15, s13, s15
	s_load_dwordx2 s[14:15], s[14:15], 0x0
	s_waitcnt lgkmcnt(0)
	s_sub_u32 s34, s14, s9
	s_subb_u32 s35, s15, 0
	s_andn2_b64 vcc, exec, s[2:3]
	s_cbranch_vccnz .LBB1_7
.LBB1_9:
	s_ashr_i32 s7, s6, 31
	s_lshl_b64 s[14:15], s[6:7], 3
	s_add_u32 s12, s12, s14
	s_addc_u32 s13, s13, s15
	s_load_dwordx2 s[12:13], s[12:13], 0x8
	s_waitcnt lgkmcnt(0)
	s_sub_u32 s30, s12, s9
	s_subb_u32 s31, s13, 0
	s_load_dword s11, s[4:5], 0x40
	s_waitcnt lgkmcnt(0)
	s_cmp_lt_i32 s11, 1
	s_cbranch_scc1 .LBB1_51
.LBB1_10:
	s_load_dwordx4 s[12:15], s[4:5], 0x68
	s_load_dwordx4 s[16:19], s[4:5], 0x30
	;; [unrolled: 1-line block ×3, first 2 shown]
	s_bitcmp1_b32 s24, 0
	v_lshl_add_u32 v2, s0, 5, v1
	s_cselect_b64 s[4:5], -1, 0
	v_ashrrev_i32_e32 v3, 31, v2
	s_xor_b64 s[36:37], s[4:5], -1
	s_waitcnt lgkmcnt(0)
	v_mul_lo_u32 v13, s22, v3
	v_mul_lo_u32 v14, s23, v2
	v_mad_u64_u32 v[9:10], s[4:5], s22, v2, 0
	v_lshlrev_b64 v[11:12], 2, v[2:3]
	v_mov_b32_e32 v7, s21
	v_add3_u32 v10, v10, v13, v14
	v_add_co_u32_e32 v6, vcc, s20, v11
	v_lshlrev_b64 v[9:10], 2, v[9:10]
	v_cmp_gt_i32_e64 s[0:1], s27, v2
	v_addc_co_u32_e32 v7, vcc, v7, v12, vcc
	s_cmp_lg_u32 s25, 0
	s_mul_i32 s29, s11, s6
	v_mov_b32_e32 v13, s21
	v_add_co_u32_e32 v9, vcc, s20, v9
	s_cselect_b64 s[6:7], -1, 0
	s_and_b64 s[20:21], s[2:3], s[0:1]
	v_mul_lo_u32 v14, s14, v3
	v_mul_lo_u32 v17, s15, v2
	v_mad_u64_u32 v[2:3], s[2:3], s14, v2, 0
	v_addc_co_u32_e32 v10, vcc, v13, v10, vcc
	v_add3_u32 v3, v3, v14, v17
	v_mov_b32_e32 v13, s13
	v_add_co_u32_e32 v11, vcc, s12, v11
	v_lshlrev_b64 v[2:3], 2, v[2:3]
	v_addc_co_u32_e32 v12, vcc, v13, v12, vcc
	v_mov_b32_e32 v15, s30
	v_mov_b32_e32 v14, s13
	v_add_co_u32_e32 v13, vcc, s12, v2
	v_mov_b32_e32 v16, s31
	v_addc_co_u32_e32 v14, vcc, v14, v3, vcc
	v_cmp_lt_i64_e32 vcc, s[34:35], v[15:16]
	v_lshlrev_b32_e32 v5, 2, v0
	v_or_b32_e32 v4, 0x1000, v5
	v_lshlrev_b32_e32 v8, 7, v1
	s_cmp_lg_u32 s8, 1
	v_cndmask_b32_e64 v2, 0, 1, vcc
	s_mov_b32 s33, 0
	s_mul_i32 s46, s11, s11
	v_cmp_neq_f32_e64 s[24:25], s28, 0
	s_cselect_b64 s[26:27], -1, 0
	v_cmp_ne_u32_e64 s[2:3], 1, v2
	v_add_u32_e32 v15, v4, v8
	s_branch .LBB1_12
.LBB1_11:                               ;   in Loop: Header=BB1_12 Depth=1
	s_or_b64 exec, exec, s[4:5]
	s_add_i32 s33, s33, 32
	s_cmp_lt_i32 s33, s11
	s_cbranch_scc0 .LBB1_51
.LBB1_12:                               ; =>This Loop Header: Depth=1
                                        ;     Child Loop BB1_15 Depth 2
                                        ;       Child Loop BB1_17 Depth 3
	v_add_u32_e32 v17, s33, v0
	v_mov_b32_e32 v16, 0
	s_and_b64 vcc, exec, s[2:3]
	v_cmp_gt_i32_e64 s[4:5], s11, v17
	s_cbranch_vccnz .LBB1_39
; %bb.13:                               ;   in Loop: Header=BB1_12 Depth=1
	v_mov_b32_e32 v16, 0
	s_mov_b64 s[12:13], s[34:35]
	s_branch .LBB1_15
.LBB1_14:                               ;   in Loop: Header=BB1_15 Depth=2
	s_add_u32 s12, s12, 1
	v_mov_b32_e32 v2, s30
	s_addc_u32 s13, s13, 0
	v_mov_b32_e32 v3, s31
	v_cmp_ge_i64_e32 vcc, s[12:13], v[2:3]
	s_cbranch_vccnz .LBB1_39
.LBB1_15:                               ;   Parent Loop BB1_12 Depth=1
                                        ; =>  This Loop Header: Depth=2
                                        ;       Child Loop BB1_17 Depth 3
	s_lshl_b64 s[38:39], s[12:13], 2
	s_add_u32 s38, s16, s38
	s_addc_u32 s39, s17, s39
	s_load_dword s8, s[38:39], 0x0
	s_mul_i32 s39, s13, s46
	s_mul_hi_u32 s40, s12, s46
	s_mul_i32 s38, s12, s46
	s_add_i32 s39, s40, s39
	s_waitcnt lgkmcnt(0)
	s_sub_i32 s8, s8, s9
	s_lshl_b64 s[38:39], s[38:39], 2
	s_mul_i32 s40, s8, s11
	s_add_u32 s8, s18, s38
	s_addc_u32 s47, s19, s39
	v_add_u32_e32 v18, s40, v0
	s_mov_b32 s48, 0
	s_branch .LBB1_17
.LBB1_16:                               ;   in Loop: Header=BB1_17 Depth=3
	s_or_b64 exec, exec, s[40:41]
	v_add_u32_e32 v2, v5, v8
	s_waitcnt vmcnt(0)
	ds_write_b32 v2, v4
	s_waitcnt lgkmcnt(0)
	s_barrier
	ds_read2_b32 v[2:3], v5 offset1:32
	ds_read_b128 v[19:22], v8 offset:4096
	ds_read_b128 v[23:26], v8 offset:4112
	ds_read2_b32 v[35:36], v5 offset0:64 offset1:96
	ds_read_b128 v[27:30], v8 offset:4128
	ds_read_b128 v[31:34], v8 offset:4144
	ds_read2_b32 v[37:38], v5 offset0:128 offset1:160
	s_waitcnt lgkmcnt(5)
	v_fmac_f32_e32 v16, v2, v19
	v_fmac_f32_e32 v16, v3, v20
	ds_read2_b32 v[2:3], v5 offset0:192 offset1:224
	s_waitcnt lgkmcnt(4)
	v_fmac_f32_e32 v16, v35, v21
	v_fmac_f32_e32 v16, v36, v22
	s_waitcnt lgkmcnt(1)
	v_fmac_f32_e32 v16, v37, v23
	v_add_u32_e32 v4, 0x400, v5
	ds_read2_b32 v[19:20], v4 offset1:32
	v_fmac_f32_e32 v16, v38, v24
	s_waitcnt lgkmcnt(1)
	v_fmac_f32_e32 v16, v2, v25
	v_fmac_f32_e32 v16, v3, v26
	ds_read2_b32 v[2:3], v4 offset0:64 offset1:96
	ds_read2_b32 v[21:22], v4 offset0:128 offset1:160
	s_waitcnt lgkmcnt(2)
	v_fmac_f32_e32 v16, v19, v27
	v_fmac_f32_e32 v16, v20, v28
	ds_read2_b32 v[23:24], v4 offset0:192 offset1:224
	s_waitcnt lgkmcnt(2)
	v_fmac_f32_e32 v16, v2, v29
	v_fmac_f32_e32 v16, v3, v30
	s_waitcnt lgkmcnt(1)
	v_fmac_f32_e32 v16, v21, v31
	v_add_u32_e32 v4, 0x800, v5
	v_fmac_f32_e32 v16, v22, v32
	ds_read2_b32 v[2:3], v4 offset1:32
	ds_read_b128 v[19:22], v8 offset:4160
	s_waitcnt lgkmcnt(2)
	v_fmac_f32_e32 v16, v23, v33
	v_fmac_f32_e32 v16, v24, v34
	ds_read2_b32 v[27:28], v4 offset0:64 offset1:96
	ds_read2_b32 v[29:30], v4 offset0:128 offset1:160
	ds_read_b128 v[23:26], v8 offset:4176
	s_add_i32 s48, s48, 32
	s_waitcnt lgkmcnt(3)
	v_fmac_f32_e32 v16, v2, v19
	v_fmac_f32_e32 v16, v3, v20
	ds_read2_b32 v[2:3], v4 offset0:192 offset1:224
	s_waitcnt lgkmcnt(3)
	v_fmac_f32_e32 v16, v27, v21
	v_fmac_f32_e32 v16, v28, v22
	v_add_u32_e32 v4, 0xc00, v5
	s_waitcnt lgkmcnt(1)
	v_fmac_f32_e32 v16, v29, v23
	ds_read2_b32 v[27:28], v4 offset1:32
	ds_read_b128 v[19:22], v8 offset:4192
	v_fmac_f32_e32 v16, v30, v24
	s_waitcnt lgkmcnt(2)
	v_fmac_f32_e32 v16, v2, v25
	v_fmac_f32_e32 v16, v3, v26
	ds_read2_b32 v[2:3], v4 offset0:64 offset1:96
	ds_read_b128 v[23:26], v8 offset:4208
	ds_read2_b32 v[29:30], v4 offset0:128 offset1:160
	s_waitcnt lgkmcnt(3)
	v_fmac_f32_e32 v16, v27, v19
	v_fmac_f32_e32 v16, v28, v20
	ds_read2_b32 v[19:20], v4 offset0:192 offset1:224
	s_waitcnt lgkmcnt(3)
	v_fmac_f32_e32 v16, v2, v21
	v_fmac_f32_e32 v16, v3, v22
	s_waitcnt lgkmcnt(1)
	v_fmac_f32_e32 v16, v29, v23
	v_fmac_f32_e32 v16, v30, v24
	;; [unrolled: 3-line block ×3, first 2 shown]
	s_cmp_ge_i32 s48, s11
	s_barrier
	s_cbranch_scc1 .LBB1_14
.LBB1_17:                               ;   Parent Loop BB1_12 Depth=1
                                        ;     Parent Loop BB1_15 Depth=2
                                        ; =>    This Inner Loop Header: Depth=3
	s_mov_b64 s[38:39], -1
	s_and_b64 vcc, exec, s[36:37]
                                        ; implicit-def: $vgpr2
	s_cbranch_vccnz .LBB1_26
; %bb.18:                               ;   in Loop: Header=BB1_17 Depth=3
	s_andn2_b64 vcc, exec, s[38:39]
	s_cbranch_vccz .LBB1_31
.LBB1_19:                               ;   in Loop: Header=BB1_17 Depth=3
	s_and_b64 vcc, exec, s[6:7]
	s_waitcnt vmcnt(0)
	ds_write_b32 v15, v2
	s_cbranch_vccz .LBB1_36
.LBB1_20:                               ;   in Loop: Header=BB1_17 Depth=3
	s_mov_b64 s[40:41], 0
	s_mov_b64 s[38:39], 0
                                        ; implicit-def: $vgpr2
	s_and_saveexec_b64 s[42:43], s[4:5]
	s_cbranch_execz .LBB1_24
; %bb.21:                               ;   in Loop: Header=BB1_17 Depth=3
	v_add_u32_e32 v3, s48, v1
	v_cmp_gt_i32_e32 vcc, s11, v3
                                        ; implicit-def: $vgpr2
	s_and_saveexec_b64 s[44:45], vcc
	s_xor_b64 s[44:45], exec, s[44:45]
; %bb.22:                               ;   in Loop: Header=BB1_17 Depth=3
	s_mov_b64 s[38:39], exec
	v_mul_lo_u32 v2, v3, s11
; %bb.23:                               ;   in Loop: Header=BB1_17 Depth=3
	s_or_b64 exec, exec, s[44:45]
	s_and_b64 s[38:39], s[38:39], exec
.LBB1_24:                               ;   in Loop: Header=BB1_17 Depth=3
	s_or_b64 exec, exec, s[42:43]
	s_and_b64 vcc, exec, s[40:41]
	s_cbranch_vccz .LBB1_37
.LBB1_25:                               ;   in Loop: Header=BB1_17 Depth=3
	v_add_u32_e32 v2, s48, v1
	v_cmp_gt_i32_e32 vcc, s11, v2
	v_mul_lo_u32 v3, v17, s11
	s_and_b64 s[40:41], s[4:5], vcc
	s_andn2_b64 s[38:39], s[38:39], exec
	s_and_b64 s[40:41], s[40:41], exec
	s_or_b64 s[38:39], s[38:39], s[40:41]
	v_mov_b32_e32 v4, 0
	s_and_saveexec_b64 s[40:41], s[38:39]
	s_cbranch_execz .LBB1_16
	s_branch .LBB1_38
.LBB1_26:                               ;   in Loop: Header=BB1_17 Depth=3
	v_mov_b32_e32 v2, 0
	s_and_saveexec_b64 s[38:39], s[0:1]
	s_cbranch_execz .LBB1_30
; %bb.27:                               ;   in Loop: Header=BB1_17 Depth=3
	v_add_u32_e32 v2, s48, v0
	v_cmp_gt_i32_e32 vcc, s11, v2
	v_mov_b32_e32 v2, 0
	s_and_saveexec_b64 s[40:41], vcc
	s_cbranch_execz .LBB1_29
; %bb.28:                               ;   in Loop: Header=BB1_17 Depth=3
	v_add_u32_e32 v2, s48, v18
	v_ashrrev_i32_e32 v4, 31, v2
	v_mul_lo_u32 v19, s23, v2
	v_mad_u64_u32 v[2:3], s[42:43], s22, v2, 0
	v_mul_lo_u32 v4, s22, v4
	v_add3_u32 v3, v3, v4, v19
	v_lshlrev_b64 v[2:3], 2, v[2:3]
	v_add_co_u32_e32 v2, vcc, v6, v2
	v_addc_co_u32_e32 v3, vcc, v7, v3, vcc
	global_load_dword v2, v[2:3], off
.LBB1_29:                               ;   in Loop: Header=BB1_17 Depth=3
	s_or_b64 exec, exec, s[40:41]
.LBB1_30:                               ;   in Loop: Header=BB1_17 Depth=3
	s_or_b64 exec, exec, s[38:39]
	s_cbranch_execnz .LBB1_19
.LBB1_31:                               ;   in Loop: Header=BB1_17 Depth=3
	s_waitcnt vmcnt(0)
	v_mov_b32_e32 v2, 0
	s_and_saveexec_b64 s[38:39], s[0:1]
	s_cbranch_execz .LBB1_35
; %bb.32:                               ;   in Loop: Header=BB1_17 Depth=3
	v_add_u32_e32 v2, s48, v0
	v_cmp_gt_i32_e32 vcc, s11, v2
	v_mov_b32_e32 v2, 0
	s_and_saveexec_b64 s[40:41], vcc
	s_cbranch_execz .LBB1_34
; %bb.33:                               ;   in Loop: Header=BB1_17 Depth=3
	v_add_u32_e32 v2, s48, v18
	v_ashrrev_i32_e32 v3, 31, v2
	v_lshlrev_b64 v[2:3], 2, v[2:3]
	v_add_co_u32_e32 v2, vcc, v9, v2
	v_addc_co_u32_e32 v3, vcc, v10, v3, vcc
	global_load_dword v2, v[2:3], off
.LBB1_34:                               ;   in Loop: Header=BB1_17 Depth=3
	s_or_b64 exec, exec, s[40:41]
.LBB1_35:                               ;   in Loop: Header=BB1_17 Depth=3
	s_or_b64 exec, exec, s[38:39]
	s_and_b64 vcc, exec, s[6:7]
	s_waitcnt vmcnt(0)
	ds_write_b32 v15, v2
	s_cbranch_vccnz .LBB1_20
.LBB1_36:                               ;   in Loop: Header=BB1_17 Depth=3
	s_mov_b64 s[38:39], 0
                                        ; implicit-def: $vgpr2
	s_cbranch_execnz .LBB1_25
.LBB1_37:                               ;   in Loop: Header=BB1_17 Depth=3
	v_mov_b32_e32 v3, v17
	v_mov_b32_e32 v4, 0
	s_and_saveexec_b64 s[40:41], s[38:39]
	s_cbranch_execz .LBB1_16
.LBB1_38:                               ;   in Loop: Header=BB1_17 Depth=3
	v_ashrrev_i32_e32 v4, 31, v3
	v_lshlrev_b64 v[3:4], 2, v[3:4]
	v_mov_b32_e32 v19, s47
	v_add_co_u32_e32 v20, vcc, s8, v3
	v_ashrrev_i32_e32 v3, 31, v2
	v_lshlrev_b64 v[2:3], 2, v[2:3]
	v_addc_co_u32_e32 v4, vcc, v19, v4, vcc
	v_add_co_u32_e32 v2, vcc, v20, v2
	v_addc_co_u32_e32 v3, vcc, v4, v3, vcc
	global_load_dword v4, v[2:3], off
	s_branch .LBB1_16
.LBB1_39:                               ;   in Loop: Header=BB1_12 Depth=1
	v_cmp_gt_i32_e32 vcc, s11, v17
	s_and_b64 s[12:13], s[20:21], vcc
	s_and_saveexec_b64 s[4:5], s[12:13]
	s_cbranch_execz .LBB1_11
; %bb.40:                               ;   in Loop: Header=BB1_12 Depth=1
	v_add_u32_e32 v2, s29, v17
	s_and_b64 vcc, exec, s[24:25]
	v_ashrrev_i32_e32 v3, 31, v2
	s_mov_b64 s[12:13], -1
	s_cbranch_vccz .LBB1_46
; %bb.41:                               ;   in Loop: Header=BB1_12 Depth=1
	s_and_b64 vcc, exec, s[26:27]
	s_cbranch_vccz .LBB1_43
; %bb.42:                               ;   in Loop: Header=BB1_12 Depth=1
	v_mul_lo_u32 v4, s15, v2
	v_mul_lo_u32 v19, s14, v3
	v_mad_u64_u32 v[17:18], s[12:13], s14, v2, 0
	s_mov_b64 s[12:13], 0
	v_add3_u32 v18, v18, v19, v4
	v_lshlrev_b64 v[17:18], 2, v[17:18]
	v_mul_f32_e32 v19, s10, v16
	v_add_co_u32_e32 v17, vcc, v11, v17
	v_addc_co_u32_e32 v18, vcc, v12, v18, vcc
	global_load_dword v4, v[17:18], off
	s_waitcnt vmcnt(0)
	v_fmac_f32_e32 v19, s28, v4
	global_store_dword v[17:18], v19, off
.LBB1_43:                               ;   in Loop: Header=BB1_12 Depth=1
	s_andn2_b64 vcc, exec, s[12:13]
	s_cbranch_vccnz .LBB1_45
; %bb.44:                               ;   in Loop: Header=BB1_12 Depth=1
	v_lshlrev_b64 v[17:18], 2, v[2:3]
	v_mul_f32_e32 v19, s10, v16
	v_add_co_u32_e32 v17, vcc, v13, v17
	v_addc_co_u32_e32 v18, vcc, v14, v18, vcc
	global_load_dword v4, v[17:18], off
	s_waitcnt vmcnt(0)
	v_fmac_f32_e32 v19, s28, v4
	global_store_dword v[17:18], v19, off
.LBB1_45:                               ;   in Loop: Header=BB1_12 Depth=1
	s_mov_b64 s[12:13], 0
.LBB1_46:                               ;   in Loop: Header=BB1_12 Depth=1
	s_andn2_b64 vcc, exec, s[12:13]
	s_cbranch_vccnz .LBB1_11
; %bb.47:                               ;   in Loop: Header=BB1_12 Depth=1
	v_mul_f32_e32 v4, s10, v16
	s_mov_b64 s[12:13], -1
	s_and_b64 vcc, exec, s[26:27]
	s_cbranch_vccz .LBB1_49
; %bb.48:                               ;   in Loop: Header=BB1_12 Depth=1
	v_mul_lo_u32 v18, s15, v2
	v_mul_lo_u32 v19, s14, v3
	v_mad_u64_u32 v[16:17], s[12:13], s14, v2, 0
	s_mov_b64 s[12:13], 0
	v_add3_u32 v17, v17, v19, v18
	v_lshlrev_b64 v[16:17], 2, v[16:17]
	v_add_co_u32_e32 v16, vcc, v11, v16
	v_addc_co_u32_e32 v17, vcc, v12, v17, vcc
	global_store_dword v[16:17], v4, off
.LBB1_49:                               ;   in Loop: Header=BB1_12 Depth=1
	s_andn2_b64 vcc, exec, s[12:13]
	s_cbranch_vccnz .LBB1_11
; %bb.50:                               ;   in Loop: Header=BB1_12 Depth=1
	v_lshlrev_b64 v[2:3], 2, v[2:3]
	v_add_co_u32_e32 v2, vcc, v13, v2
	v_addc_co_u32_e32 v3, vcc, v14, v3, vcc
	global_store_dword v[2:3], v4, off
	s_branch .LBB1_11
.LBB1_51:
	s_endpgm
	.section	.rodata,"a",@progbits
	.p2align	6, 0x0
	.amdhsa_kernel _ZN9rocsparseL29bsrmm_general_blockdim_kernelILj32ELj32EliffffEEvb20rocsparse_direction_T2_S2_llNS_24const_host_device_scalarIT6_EEPKT1_PKS2_PKT3_S2_PKT4_llS5_PT5_ll16rocsparse_order_21rocsparse_index_base_b
		.amdhsa_group_segment_fixed_size 8192
		.amdhsa_private_segment_fixed_size 0
		.amdhsa_kernarg_size 140
		.amdhsa_user_sgpr_count 6
		.amdhsa_user_sgpr_private_segment_buffer 1
		.amdhsa_user_sgpr_dispatch_ptr 0
		.amdhsa_user_sgpr_queue_ptr 0
		.amdhsa_user_sgpr_kernarg_segment_ptr 1
		.amdhsa_user_sgpr_dispatch_id 0
		.amdhsa_user_sgpr_flat_scratch_init 0
		.amdhsa_user_sgpr_private_segment_size 0
		.amdhsa_uses_dynamic_stack 0
		.amdhsa_system_sgpr_private_segment_wavefront_offset 0
		.amdhsa_system_sgpr_workgroup_id_x 1
		.amdhsa_system_sgpr_workgroup_id_y 1
		.amdhsa_system_sgpr_workgroup_id_z 0
		.amdhsa_system_sgpr_workgroup_info 0
		.amdhsa_system_vgpr_workitem_id 1
		.amdhsa_next_free_vgpr 39
		.amdhsa_next_free_sgpr 61
		.amdhsa_reserve_vcc 1
		.amdhsa_reserve_flat_scratch 0
		.amdhsa_float_round_mode_32 0
		.amdhsa_float_round_mode_16_64 0
		.amdhsa_float_denorm_mode_32 3
		.amdhsa_float_denorm_mode_16_64 3
		.amdhsa_dx10_clamp 1
		.amdhsa_ieee_mode 1
		.amdhsa_fp16_overflow 0
		.amdhsa_exception_fp_ieee_invalid_op 0
		.amdhsa_exception_fp_denorm_src 0
		.amdhsa_exception_fp_ieee_div_zero 0
		.amdhsa_exception_fp_ieee_overflow 0
		.amdhsa_exception_fp_ieee_underflow 0
		.amdhsa_exception_fp_ieee_inexact 0
		.amdhsa_exception_int_div_zero 0
	.end_amdhsa_kernel
	.section	.text._ZN9rocsparseL29bsrmm_general_blockdim_kernelILj32ELj32EliffffEEvb20rocsparse_direction_T2_S2_llNS_24const_host_device_scalarIT6_EEPKT1_PKS2_PKT3_S2_PKT4_llS5_PT5_ll16rocsparse_order_21rocsparse_index_base_b,"axG",@progbits,_ZN9rocsparseL29bsrmm_general_blockdim_kernelILj32ELj32EliffffEEvb20rocsparse_direction_T2_S2_llNS_24const_host_device_scalarIT6_EEPKT1_PKS2_PKT3_S2_PKT4_llS5_PT5_ll16rocsparse_order_21rocsparse_index_base_b,comdat
.Lfunc_end1:
	.size	_ZN9rocsparseL29bsrmm_general_blockdim_kernelILj32ELj32EliffffEEvb20rocsparse_direction_T2_S2_llNS_24const_host_device_scalarIT6_EEPKT1_PKS2_PKT3_S2_PKT4_llS5_PT5_ll16rocsparse_order_21rocsparse_index_base_b, .Lfunc_end1-_ZN9rocsparseL29bsrmm_general_blockdim_kernelILj32ELj32EliffffEEvb20rocsparse_direction_T2_S2_llNS_24const_host_device_scalarIT6_EEPKT1_PKS2_PKT3_S2_PKT4_llS5_PT5_ll16rocsparse_order_21rocsparse_index_base_b
                                        ; -- End function
	.set _ZN9rocsparseL29bsrmm_general_blockdim_kernelILj32ELj32EliffffEEvb20rocsparse_direction_T2_S2_llNS_24const_host_device_scalarIT6_EEPKT1_PKS2_PKT3_S2_PKT4_llS5_PT5_ll16rocsparse_order_21rocsparse_index_base_b.num_vgpr, 39
	.set _ZN9rocsparseL29bsrmm_general_blockdim_kernelILj32ELj32EliffffEEvb20rocsparse_direction_T2_S2_llNS_24const_host_device_scalarIT6_EEPKT1_PKS2_PKT3_S2_PKT4_llS5_PT5_ll16rocsparse_order_21rocsparse_index_base_b.num_agpr, 0
	.set _ZN9rocsparseL29bsrmm_general_blockdim_kernelILj32ELj32EliffffEEvb20rocsparse_direction_T2_S2_llNS_24const_host_device_scalarIT6_EEPKT1_PKS2_PKT3_S2_PKT4_llS5_PT5_ll16rocsparse_order_21rocsparse_index_base_b.numbered_sgpr, 49
	.set _ZN9rocsparseL29bsrmm_general_blockdim_kernelILj32ELj32EliffffEEvb20rocsparse_direction_T2_S2_llNS_24const_host_device_scalarIT6_EEPKT1_PKS2_PKT3_S2_PKT4_llS5_PT5_ll16rocsparse_order_21rocsparse_index_base_b.num_named_barrier, 0
	.set _ZN9rocsparseL29bsrmm_general_blockdim_kernelILj32ELj32EliffffEEvb20rocsparse_direction_T2_S2_llNS_24const_host_device_scalarIT6_EEPKT1_PKS2_PKT3_S2_PKT4_llS5_PT5_ll16rocsparse_order_21rocsparse_index_base_b.private_seg_size, 0
	.set _ZN9rocsparseL29bsrmm_general_blockdim_kernelILj32ELj32EliffffEEvb20rocsparse_direction_T2_S2_llNS_24const_host_device_scalarIT6_EEPKT1_PKS2_PKT3_S2_PKT4_llS5_PT5_ll16rocsparse_order_21rocsparse_index_base_b.uses_vcc, 1
	.set _ZN9rocsparseL29bsrmm_general_blockdim_kernelILj32ELj32EliffffEEvb20rocsparse_direction_T2_S2_llNS_24const_host_device_scalarIT6_EEPKT1_PKS2_PKT3_S2_PKT4_llS5_PT5_ll16rocsparse_order_21rocsparse_index_base_b.uses_flat_scratch, 0
	.set _ZN9rocsparseL29bsrmm_general_blockdim_kernelILj32ELj32EliffffEEvb20rocsparse_direction_T2_S2_llNS_24const_host_device_scalarIT6_EEPKT1_PKS2_PKT3_S2_PKT4_llS5_PT5_ll16rocsparse_order_21rocsparse_index_base_b.has_dyn_sized_stack, 0
	.set _ZN9rocsparseL29bsrmm_general_blockdim_kernelILj32ELj32EliffffEEvb20rocsparse_direction_T2_S2_llNS_24const_host_device_scalarIT6_EEPKT1_PKS2_PKT3_S2_PKT4_llS5_PT5_ll16rocsparse_order_21rocsparse_index_base_b.has_recursion, 0
	.set _ZN9rocsparseL29bsrmm_general_blockdim_kernelILj32ELj32EliffffEEvb20rocsparse_direction_T2_S2_llNS_24const_host_device_scalarIT6_EEPKT1_PKS2_PKT3_S2_PKT4_llS5_PT5_ll16rocsparse_order_21rocsparse_index_base_b.has_indirect_call, 0
	.section	.AMDGPU.csdata,"",@progbits
; Kernel info:
; codeLenInByte = 1920
; TotalNumSgprs: 53
; NumVgprs: 39
; ScratchSize: 0
; MemoryBound: 0
; FloatMode: 240
; IeeeMode: 1
; LDSByteSize: 8192 bytes/workgroup (compile time only)
; SGPRBlocks: 8
; VGPRBlocks: 9
; NumSGPRsForWavesPerEU: 65
; NumVGPRsForWavesPerEU: 39
; Occupancy: 6
; WaveLimiterHint : 1
; COMPUTE_PGM_RSRC2:SCRATCH_EN: 0
; COMPUTE_PGM_RSRC2:USER_SGPR: 6
; COMPUTE_PGM_RSRC2:TRAP_HANDLER: 0
; COMPUTE_PGM_RSRC2:TGID_X_EN: 1
; COMPUTE_PGM_RSRC2:TGID_Y_EN: 1
; COMPUTE_PGM_RSRC2:TGID_Z_EN: 0
; COMPUTE_PGM_RSRC2:TIDIG_COMP_CNT: 1
	.section	.text._ZN9rocsparseL29bsrmm_general_blockdim_kernelILj32ELj32EllffffEEvb20rocsparse_direction_T2_S2_llNS_24const_host_device_scalarIT6_EEPKT1_PKS2_PKT3_S2_PKT4_llS5_PT5_ll16rocsparse_order_21rocsparse_index_base_b,"axG",@progbits,_ZN9rocsparseL29bsrmm_general_blockdim_kernelILj32ELj32EllffffEEvb20rocsparse_direction_T2_S2_llNS_24const_host_device_scalarIT6_EEPKT1_PKS2_PKT3_S2_PKT4_llS5_PT5_ll16rocsparse_order_21rocsparse_index_base_b,comdat
	.globl	_ZN9rocsparseL29bsrmm_general_blockdim_kernelILj32ELj32EllffffEEvb20rocsparse_direction_T2_S2_llNS_24const_host_device_scalarIT6_EEPKT1_PKS2_PKT3_S2_PKT4_llS5_PT5_ll16rocsparse_order_21rocsparse_index_base_b ; -- Begin function _ZN9rocsparseL29bsrmm_general_blockdim_kernelILj32ELj32EllffffEEvb20rocsparse_direction_T2_S2_llNS_24const_host_device_scalarIT6_EEPKT1_PKS2_PKT3_S2_PKT4_llS5_PT5_ll16rocsparse_order_21rocsparse_index_base_b
	.p2align	8
	.type	_ZN9rocsparseL29bsrmm_general_blockdim_kernelILj32ELj32EllffffEEvb20rocsparse_direction_T2_S2_llNS_24const_host_device_scalarIT6_EEPKT1_PKS2_PKT3_S2_PKT4_llS5_PT5_ll16rocsparse_order_21rocsparse_index_base_b,@function
_ZN9rocsparseL29bsrmm_general_blockdim_kernelILj32ELj32EllffffEEvb20rocsparse_direction_T2_S2_llNS_24const_host_device_scalarIT6_EEPKT1_PKS2_PKT3_S2_PKT4_llS5_PT5_ll16rocsparse_order_21rocsparse_index_base_b: ; @_ZN9rocsparseL29bsrmm_general_blockdim_kernelILj32ELj32EllffffEEvb20rocsparse_direction_T2_S2_llNS_24const_host_device_scalarIT6_EEPKT1_PKS2_PKT3_S2_PKT4_llS5_PT5_ll16rocsparse_order_21rocsparse_index_base_b
; %bb.0:
	s_load_dwordx4 s[16:19], s[4:5], 0x88
	s_mov_b32 s0, s7
	v_mov_b32_e32 v2, v1
	s_waitcnt lgkmcnt(0)
	s_bitcmp1_b32 s18, 0
	s_load_dwordx2 s[18:19], s[4:5], 0x28
	s_load_dwordx2 s[28:29], s[4:5], 0x68
	s_cselect_b64 s[8:9], -1, 0
	s_xor_b64 s[2:3], s[8:9], -1
	s_and_b64 vcc, exec, s[8:9]
	s_cbranch_vccnz .LBB2_2
; %bb.1:
	s_waitcnt lgkmcnt(0)
	s_load_dword s18, s[18:19], 0x0
.LBB2_2:
	s_andn2_b64 vcc, exec, s[2:3]
	s_cbranch_vccnz .LBB2_4
; %bb.3:
	s_waitcnt lgkmcnt(0)
	s_load_dword s28, s[28:29], 0x0
.LBB2_4:
	s_waitcnt lgkmcnt(0)
	v_cmp_eq_f32_e64 s[2:3], s18, 0
	v_cmp_eq_f32_e64 s[8:9], s28, 1.0
	s_and_b64 s[2:3], s[2:3], s[8:9]
	s_and_b64 vcc, exec, s[2:3]
	s_cbranch_vccnz .LBB2_53
; %bb.5:
	s_load_dwordx4 s[24:27], s[4:5], 0x8
	s_load_dwordx2 s[8:9], s[4:5], 0x30
	s_ashr_i32 s7, s6, 31
	v_mov_b32_e32 v3, s6
	v_mov_b32_e32 v4, s7
	s_waitcnt lgkmcnt(0)
	v_cmp_le_i64_e32 vcc, s[24:25], v[3:4]
	v_cmp_gt_i64_e64 s[2:3], s[24:25], v[3:4]
	s_mov_b64 s[30:31], 0
	s_mov_b64 s[24:25], 0
	s_cbranch_vccz .LBB2_8
; %bb.6:
	s_andn2_b64 vcc, exec, s[2:3]
	s_cbranch_vccz .LBB2_9
.LBB2_7:
	s_load_dwordx2 s[34:35], s[4:5], 0x48
	s_waitcnt lgkmcnt(0)
	v_cmp_lt_i64_e64 s[8:9], s[34:35], 1
	s_and_b64 vcc, exec, s[8:9]
	s_cbranch_vccz .LBB2_10
	s_branch .LBB2_53
.LBB2_8:
	s_lshl_b64 s[10:11], s[6:7], 3
	s_add_u32 s10, s8, s10
	s_addc_u32 s11, s9, s11
	s_load_dwordx2 s[10:11], s[10:11], 0x0
	s_waitcnt lgkmcnt(0)
	s_sub_u32 s24, s10, s17
	s_subb_u32 s25, s11, 0
	s_andn2_b64 vcc, exec, s[2:3]
	s_cbranch_vccnz .LBB2_7
.LBB2_9:
	s_lshl_b64 s[10:11], s[6:7], 3
	s_add_u32 s8, s8, s10
	s_addc_u32 s9, s9, s11
	s_load_dwordx2 s[8:9], s[8:9], 0x8
	s_waitcnt lgkmcnt(0)
	s_sub_u32 s30, s8, s17
	s_subb_u32 s31, s9, 0
	s_load_dwordx2 s[34:35], s[4:5], 0x48
	s_waitcnt lgkmcnt(0)
	v_cmp_lt_i64_e64 s[8:9], s[34:35], 1
	s_and_b64 vcc, exec, s[8:9]
	s_cbranch_vccnz .LBB2_53
.LBB2_10:
	s_load_dwordx4 s[8:11], s[4:5], 0x70
	s_load_dwordx4 s[20:23], s[4:5], 0x50
	;; [unrolled: 1-line block ×3, first 2 shown]
	s_load_dwordx2 s[38:39], s[4:5], 0x0
	v_lshl_add_u32 v11, s0, 5, v2
	v_mov_b32_e32 v12, 0
	s_waitcnt lgkmcnt(0)
	v_mad_u64_u32 v[4:5], s[4:5], s10, v11, 0
	s_bitcmp1_b32 s38, 0
	s_cselect_b64 s[0:1], -1, 0
	s_xor_b64 s[36:37], s[0:1], -1
	s_mul_i32 s0, s35, s6
	s_mul_hi_u32 s1, s34, s6
	s_add_i32 s19, s1, s0
	v_cmp_gt_i64_e64 s[0:1], s[26:27], v[11:12]
	s_cmp_lg_u32 s39, 0
	s_cselect_b64 s[26:27], -1, 0
	s_and_b64 s[38:39], s[2:3], s[0:1]
	v_mad_u64_u32 v[9:10], s[2:3], s22, v11, 0
	v_mad_u64_u32 v[5:6], s[2:3], s11, v11, v[5:6]
	v_lshlrev_b64 v[7:8], 2, v[11:12]
	v_mov_b32_e32 v6, v10
	v_mad_u64_u32 v[10:11], s[2:3], s23, v11, v[6:7]
	v_mov_b32_e32 v1, s9
	v_add_co_u32_e32 v27, vcc, s8, v7
	v_lshlrev_b64 v[4:5], 2, v[4:5]
	v_addc_co_u32_e32 v28, vcc, v1, v8, vcc
	v_mov_b32_e32 v16, s9
	v_add_co_u32_e32 v30, vcc, s8, v4
	v_addc_co_u32_e32 v31, vcc, v16, v5, vcc
	v_lshlrev_b64 v[5:6], 2, v[9:10]
	v_lshlrev_b32_e32 v3, 2, v0
	s_cmp_lg_u32 s16, 1
	v_add_co_u32_e32 v5, vcc, v5, v3
	s_mul_i32 s2, s24, s35
	s_mul_hi_u32 s3, s24, s34
	s_mov_b32 s33, s17
	s_cselect_b64 s[16:17], -1, 0
	v_addc_co_u32_e32 v6, vcc, 0, v6, vcc
	s_add_i32 s2, s3, s2
	s_mul_i32 s3, s25, s34
	v_mov_b32_e32 v9, s21
	v_add_co_u32_e32 v5, vcc, s20, v5
	s_add_i32 s3, s2, s3
	s_mul_i32 s2, s24, s34
	v_addc_co_u32_e32 v6, vcc, v9, v6, vcc
	s_lshl_b64 s[2:3], s[2:3], 2
	v_mov_b32_e32 v17, s3
	v_add_co_u32_e32 v9, vcc, s2, v3
	v_addc_co_u32_e32 v10, vcc, 0, v17, vcc
	v_lshlrev_b32_e32 v11, 2, v2
	v_mul_lo_u32 v18, s34, v10
	v_mul_lo_u32 v19, s35, v9
	v_mad_u64_u32 v[9:10], s[4:5], s34, v9, v[11:12]
	v_mov_b32_e32 v16, s21
	v_add_co_u32_e32 v7, vcc, s20, v7
	v_addc_co_u32_e32 v8, vcc, v16, v8, vcc
	v_mov_b32_e32 v1, v12
	v_mov_b32_e32 v4, v12
	v_add3_u32 v10, v19, v10, v18
	v_mov_b32_e32 v12, s15
	v_add_co_u32_e32 v9, vcc, s14, v9
	v_addc_co_u32_e32 v10, vcc, v12, v10, vcc
	v_add_co_u32_e32 v11, vcc, s2, v11
	s_mul_i32 s4, s34, s35
	s_mul_hi_u32 s3, s34, s34
	v_addc_co_u32_e32 v12, vcc, 0, v17, vcc
	s_add_i32 s5, s3, s4
	v_mul_lo_u32 v16, s34, v12
	v_mul_lo_u32 v17, s35, v11
	v_mad_u64_u32 v[11:12], s[2:3], s34, v11, v[3:4]
	v_mov_b32_e32 v13, s30
	v_mov_b32_e32 v14, s31
	s_add_i32 s3, s5, s4
	s_mul_i32 s2, s34, s34
	v_or_b32_e32 v15, 0x1000, v3
	v_lshlrev_b32_e32 v29, 7, v2
	s_lshl_b64 s[44:45], s[2:3], 2
	v_add3_u32 v4, v17, v12, v16
	v_mov_b32_e32 v12, s15
	v_add_co_u32_e32 v11, vcc, s14, v11
	v_cmp_lt_i64_e64 s[2:3], s[24:25], v[13:14]
	s_mul_i32 s29, s34, s6
	v_cmp_neq_f32_e64 s[40:41], s28, 0
	s_lshl_b64 s[8:9], s[34:35], 2
	s_lshl_b64 s[20:21], s[22:23], 2
	;; [unrolled: 1-line block ×4, first 2 shown]
	v_addc_co_u32_e32 v12, vcc, v12, v4, vcc
	s_mov_b64 s[14:15], 0
	v_add_u32_e32 v4, v15, v29
	s_movk_i32 s52, 0x80
	s_branch .LBB2_12
.LBB2_11:                               ;   in Loop: Header=BB2_12 Depth=1
	s_or_b64 exec, exec, s[4:5]
	v_mov_b32_e32 v13, s43
	v_add_co_u32_e32 v9, vcc, s42, v9
	s_add_u32 s14, s14, 32
	v_addc_co_u32_e32 v10, vcc, v10, v13, vcc
	v_mov_b32_e32 v13, s34
	s_addc_u32 s15, s15, 0
	v_mov_b32_e32 v14, s35
	v_add_co_u32_e32 v11, vcc, 0x80, v11
	v_cmp_lt_i64_e64 s[4:5], s[14:15], v[13:14]
	v_addc_co_u32_e32 v12, vcc, 0, v12, vcc
	s_and_b64 vcc, exec, s[4:5]
	s_cbranch_vccz .LBB2_53
.LBB2_12:                               ; =>This Loop Header: Depth=1
                                        ;     Child Loop BB2_15 Depth 2
                                        ;       Child Loop BB2_19 Depth 3
	v_mov_b32_e32 v14, s15
	v_add_co_u32_e32 v13, vcc, s14, v0
	v_addc_co_u32_e32 v14, vcc, 0, v14, vcc
	v_cmp_gt_i64_e64 s[4:5], s[34:35], v[13:14]
	s_andn2_b64 vcc, exec, s[2:3]
	v_mov_b32_e32 v32, 0
	s_cbranch_vccnz .LBB2_41
; %bb.13:                               ;   in Loop: Header=BB2_12 Depth=1
	v_mov_b32_e32 v16, v12
	v_mov_b32_e32 v18, v10
	;; [unrolled: 1-line block ×5, first 2 shown]
	s_mov_b64 s[46:47], s[24:25]
	s_branch .LBB2_15
.LBB2_14:                               ;   in Loop: Header=BB2_15 Depth=2
	s_add_u32 s46, s46, 1
	v_mov_b32_e32 v21, s45
	v_add_co_u32_e32 v17, vcc, s44, v17
	v_mov_b32_e32 v19, s30
	s_addc_u32 s47, s47, 0
	v_addc_co_u32_e32 v18, vcc, v18, v21, vcc
	v_mov_b32_e32 v20, s31
	v_cmp_ge_i64_e32 vcc, s[46:47], v[19:20]
	v_add_co_u32_e64 v15, s[6:7], s44, v15
	v_addc_co_u32_e64 v16, s[6:7], v16, v21, s[6:7]
	s_cbranch_vccnz .LBB2_41
.LBB2_15:                               ;   Parent Loop BB2_12 Depth=1
                                        ; =>  This Loop Header: Depth=2
                                        ;       Child Loop BB2_19 Depth 3
	s_lshl_b64 s[6:7], s[46:47], 3
	s_add_u32 s6, s12, s6
	s_addc_u32 s7, s13, s7
	s_load_dwordx2 s[6:7], s[6:7], 0x0
	v_mov_b32_e32 v21, s34
	v_mov_b32_e32 v26, v18
	;; [unrolled: 1-line block ×3, first 2 shown]
	s_waitcnt lgkmcnt(0)
	s_sub_u32 s48, s6, s33
	s_subb_u32 s49, s7, 0
	v_mov_b32_e32 v19, s48
	v_mad_u64_u32 v[21:22], s[6:7], s48, v21, v[0:1]
	v_mad_u64_u32 v[19:20], s[6:7], s8, v19, v[5:6]
	s_mul_i32 s6, s49, s34
	s_mul_i32 s7, s48, s35
	s_add_i32 s7, s7, s6
	v_add_u32_e32 v22, s7, v22
	v_mul_lo_u32 v23, s20, v22
	v_mul_lo_u32 v24, s21, v21
	v_mad_u64_u32 v[21:22], s[6:7], s20, v21, v[7:8]
	s_mul_i32 s50, s9, s48
	s_mul_i32 s6, s8, s49
	s_add_i32 s6, s6, s50
	v_add3_u32 v22, v24, v22, v23
	v_mov_b32_e32 v24, v16
	v_add_u32_e32 v20, s6, v20
	s_mov_b64 s[48:49], 0
	v_mov_b32_e32 v23, v15
	s_branch .LBB2_19
.LBB2_16:                               ;   in Loop: Header=BB2_19 Depth=3
	s_or_b64 exec, exec, s[50:51]
.LBB2_17:                               ;   in Loop: Header=BB2_19 Depth=3
	s_or_b64 exec, exec, s[6:7]
.LBB2_18:                               ;   in Loop: Header=BB2_19 Depth=3
	v_add_u32_e32 v34, v3, v29
	s_waitcnt vmcnt(0)
	ds_write_b32 v34, v33
	s_waitcnt lgkmcnt(0)
	s_barrier
	ds_read2_b32 v[49:50], v3 offset1:32
	ds_read_b128 v[33:36], v29 offset:4096
	ds_read_b128 v[37:40], v29 offset:4112
	ds_read2_b32 v[51:52], v3 offset0:64 offset1:96
	ds_read_b128 v[41:44], v29 offset:4128
	ds_read_b128 v[45:48], v29 offset:4144
	ds_read2_b32 v[53:54], v3 offset0:128 offset1:160
	s_waitcnt lgkmcnt(5)
	v_fmac_f32_e32 v32, v49, v33
	v_fmac_f32_e32 v32, v50, v34
	ds_read2_b32 v[33:34], v3 offset0:192 offset1:224
	s_waitcnt lgkmcnt(4)
	v_fmac_f32_e32 v32, v51, v35
	v_fmac_f32_e32 v32, v52, v36
	s_waitcnt lgkmcnt(1)
	v_fmac_f32_e32 v32, v53, v37
	v_add_u32_e32 v49, 0x400, v3
	ds_read2_b32 v[35:36], v49 offset1:32
	v_fmac_f32_e32 v32, v54, v38
	s_waitcnt lgkmcnt(1)
	v_fmac_f32_e32 v32, v33, v39
	v_fmac_f32_e32 v32, v34, v40
	ds_read2_b32 v[33:34], v49 offset0:64 offset1:96
	ds_read2_b32 v[37:38], v49 offset0:128 offset1:160
	s_waitcnt lgkmcnt(2)
	v_fmac_f32_e32 v32, v35, v41
	v_fmac_f32_e32 v32, v36, v42
	ds_read2_b32 v[39:40], v49 offset0:192 offset1:224
	s_waitcnt lgkmcnt(2)
	v_fmac_f32_e32 v32, v33, v43
	v_fmac_f32_e32 v32, v34, v44
	s_waitcnt lgkmcnt(1)
	v_fmac_f32_e32 v32, v37, v45
	v_fmac_f32_e32 v32, v38, v46
	s_waitcnt lgkmcnt(0)
	v_fmac_f32_e32 v32, v39, v47
	v_add_u32_e32 v47, 0x800, v3
	ds_read2_b32 v[41:42], v47 offset1:32
	ds_read_b128 v[33:36], v29 offset:4160
	v_fmac_f32_e32 v32, v40, v48
	ds_read2_b32 v[43:44], v47 offset0:64 offset1:96
	ds_read2_b32 v[45:46], v47 offset0:128 offset1:160
	ds_read_b128 v[37:40], v29 offset:4176
	v_add_co_u32_e32 v19, vcc, s52, v19
	s_waitcnt lgkmcnt(3)
	v_fmac_f32_e32 v32, v41, v33
	v_fmac_f32_e32 v32, v42, v34
	ds_read2_b32 v[41:42], v47 offset0:192 offset1:224
	s_waitcnt lgkmcnt(3)
	v_fmac_f32_e32 v32, v43, v35
	v_fmac_f32_e32 v32, v44, v36
	v_add_u32_e32 v47, 0xc00, v3
	s_waitcnt lgkmcnt(1)
	v_fmac_f32_e32 v32, v45, v37
	ds_read2_b32 v[43:44], v47 offset1:32
	ds_read_b128 v[33:36], v29 offset:4192
	v_fmac_f32_e32 v32, v46, v38
	s_waitcnt lgkmcnt(2)
	v_fmac_f32_e32 v32, v41, v39
	v_fmac_f32_e32 v32, v42, v40
	ds_read2_b32 v[41:42], v47 offset0:64 offset1:96
	ds_read_b128 v[37:40], v29 offset:4208
	ds_read2_b32 v[45:46], v47 offset0:128 offset1:160
	s_waitcnt lgkmcnt(3)
	v_fmac_f32_e32 v32, v43, v33
	v_fmac_f32_e32 v32, v44, v34
	ds_read2_b32 v[33:34], v47 offset0:192 offset1:224
	s_waitcnt lgkmcnt(3)
	v_fmac_f32_e32 v32, v41, v35
	v_fmac_f32_e32 v32, v42, v36
	s_waitcnt lgkmcnt(1)
	v_fmac_f32_e32 v32, v45, v37
	v_fmac_f32_e32 v32, v46, v38
	v_addc_co_u32_e32 v20, vcc, 0, v20, vcc
	s_waitcnt lgkmcnt(0)
	v_fmac_f32_e32 v32, v33, v39
	v_mov_b32_e32 v33, s23
	v_add_co_u32_e32 v21, vcc, s22, v21
	v_addc_co_u32_e32 v22, vcc, v22, v33, vcc
	v_fmac_f32_e32 v32, v34, v40
	s_add_u32 s48, s48, 32
	v_add_co_u32_e32 v25, vcc, 0x80, v25
	v_mov_b32_e32 v33, s34
	s_addc_u32 s49, s49, 0
	v_addc_co_u32_e32 v26, vcc, 0, v26, vcc
	v_mov_b32_e32 v34, s35
	v_cmp_ge_i64_e32 vcc, s[48:49], v[33:34]
	v_mov_b32_e32 v35, s43
	v_add_co_u32_e64 v23, s[6:7], s42, v23
	v_addc_co_u32_e64 v24, s[6:7], v24, v35, s[6:7]
	s_barrier
	s_cbranch_vccnz .LBB2_14
.LBB2_19:                               ;   Parent Loop BB2_12 Depth=1
                                        ;     Parent Loop BB2_15 Depth=2
                                        ; =>    This Inner Loop Header: Depth=3
	s_mov_b64 s[6:7], -1
	s_and_b64 vcc, exec, s[36:37]
                                        ; implicit-def: $vgpr33
	s_cbranch_vccnz .LBB2_27
; %bb.20:                               ;   in Loop: Header=BB2_19 Depth=3
	s_andn2_b64 vcc, exec, s[6:7]
	s_cbranch_vccz .LBB2_32
.LBB2_21:                               ;   in Loop: Header=BB2_19 Depth=3
	s_and_b64 vcc, exec, s[26:27]
	s_waitcnt vmcnt(0)
	ds_write_b32 v4, v33
	s_cbranch_vccz .LBB2_37
.LBB2_22:                               ;   in Loop: Header=BB2_19 Depth=3
	v_mov_b32_e32 v33, 0
	s_and_saveexec_b64 s[6:7], s[4:5]
	s_cbranch_execz .LBB2_26
; %bb.23:                               ;   in Loop: Header=BB2_19 Depth=3
	v_mov_b32_e32 v34, s49
	v_add_co_u32_e32 v33, vcc, s48, v2
	v_addc_co_u32_e32 v34, vcc, 0, v34, vcc
	v_cmp_gt_i64_e32 vcc, s[34:35], v[33:34]
	v_mov_b32_e32 v33, 0
	s_and_saveexec_b64 s[50:51], vcc
	s_cbranch_execz .LBB2_25
; %bb.24:                               ;   in Loop: Header=BB2_19 Depth=3
	global_load_dword v33, v[23:24], off
.LBB2_25:                               ;   in Loop: Header=BB2_19 Depth=3
	s_or_b64 exec, exec, s[50:51]
.LBB2_26:                               ;   in Loop: Header=BB2_19 Depth=3
	s_or_b64 exec, exec, s[6:7]
	s_cbranch_execnz .LBB2_18
	s_branch .LBB2_38
.LBB2_27:                               ;   in Loop: Header=BB2_19 Depth=3
	v_mov_b32_e32 v33, 0
	s_and_saveexec_b64 s[6:7], s[0:1]
	s_cbranch_execz .LBB2_31
; %bb.28:                               ;   in Loop: Header=BB2_19 Depth=3
	v_mov_b32_e32 v34, s49
	v_add_co_u32_e32 v33, vcc, s48, v0
	v_addc_co_u32_e32 v34, vcc, 0, v34, vcc
	v_cmp_gt_i64_e32 vcc, s[34:35], v[33:34]
	v_mov_b32_e32 v33, 0
	s_and_saveexec_b64 s[50:51], vcc
	s_cbranch_execz .LBB2_30
; %bb.29:                               ;   in Loop: Header=BB2_19 Depth=3
	global_load_dword v33, v[21:22], off
.LBB2_30:                               ;   in Loop: Header=BB2_19 Depth=3
	s_or_b64 exec, exec, s[50:51]
.LBB2_31:                               ;   in Loop: Header=BB2_19 Depth=3
	s_or_b64 exec, exec, s[6:7]
	s_cbranch_execnz .LBB2_21
.LBB2_32:                               ;   in Loop: Header=BB2_19 Depth=3
	s_waitcnt vmcnt(0)
	v_mov_b32_e32 v33, 0
	s_and_saveexec_b64 s[6:7], s[0:1]
	s_cbranch_execz .LBB2_36
; %bb.33:                               ;   in Loop: Header=BB2_19 Depth=3
	v_mov_b32_e32 v34, s49
	v_add_co_u32_e32 v33, vcc, s48, v0
	v_addc_co_u32_e32 v34, vcc, 0, v34, vcc
	v_cmp_gt_i64_e32 vcc, s[34:35], v[33:34]
	v_mov_b32_e32 v33, 0
	s_and_saveexec_b64 s[50:51], vcc
	s_cbranch_execz .LBB2_35
; %bb.34:                               ;   in Loop: Header=BB2_19 Depth=3
	global_load_dword v33, v[19:20], off
.LBB2_35:                               ;   in Loop: Header=BB2_19 Depth=3
	s_or_b64 exec, exec, s[50:51]
.LBB2_36:                               ;   in Loop: Header=BB2_19 Depth=3
	s_or_b64 exec, exec, s[6:7]
	s_and_b64 vcc, exec, s[26:27]
	s_waitcnt vmcnt(0)
	ds_write_b32 v4, v33
	s_cbranch_vccnz .LBB2_22
.LBB2_37:                               ;   in Loop: Header=BB2_19 Depth=3
                                        ; implicit-def: $vgpr33
.LBB2_38:                               ;   in Loop: Header=BB2_19 Depth=3
	s_waitcnt vmcnt(0)
	v_mov_b32_e32 v33, 0
	s_and_saveexec_b64 s[6:7], s[4:5]
	s_cbranch_execz .LBB2_17
; %bb.39:                               ;   in Loop: Header=BB2_19 Depth=3
	v_mov_b32_e32 v34, s49
	v_add_co_u32_e32 v33, vcc, s48, v2
	v_addc_co_u32_e32 v34, vcc, 0, v34, vcc
	v_cmp_gt_i64_e32 vcc, s[34:35], v[33:34]
	v_mov_b32_e32 v33, 0
	s_and_saveexec_b64 s[50:51], vcc
	s_cbranch_execz .LBB2_16
; %bb.40:                               ;   in Loop: Header=BB2_19 Depth=3
	global_load_dword v33, v[25:26], off
	s_branch .LBB2_16
.LBB2_41:                               ;   in Loop: Header=BB2_12 Depth=1
	v_cmp_gt_i64_e32 vcc, s[34:35], v[13:14]
	s_and_b64 s[6:7], s[38:39], vcc
	s_and_saveexec_b64 s[4:5], s[6:7]
	s_cbranch_execz .LBB2_11
; %bb.42:                               ;   in Loop: Header=BB2_12 Depth=1
	v_mov_b32_e32 v15, s19
	v_add_co_u32_e32 v13, vcc, s29, v13
	v_addc_co_u32_e32 v14, vcc, v14, v15, vcc
	s_mov_b64 s[6:7], -1
	s_and_b64 vcc, exec, s[40:41]
	s_cbranch_vccz .LBB2_48
; %bb.43:                               ;   in Loop: Header=BB2_12 Depth=1
	s_and_b64 vcc, exec, s[16:17]
	s_cbranch_vccz .LBB2_45
; %bb.44:                               ;   in Loop: Header=BB2_12 Depth=1
	v_mul_lo_u32 v17, v14, s10
	v_mul_lo_u32 v18, v13, s11
	v_mad_u64_u32 v[15:16], s[6:7], v13, s10, 0
	s_mov_b64 s[6:7], 0
	v_add3_u32 v16, v16, v18, v17
	v_lshlrev_b64 v[15:16], 2, v[15:16]
	v_mul_f32_e32 v18, s18, v32
	v_add_co_u32_e32 v15, vcc, v27, v15
	v_addc_co_u32_e32 v16, vcc, v28, v16, vcc
	global_load_dword v17, v[15:16], off
	s_waitcnt vmcnt(0)
	v_fmac_f32_e32 v18, s28, v17
	global_store_dword v[15:16], v18, off
.LBB2_45:                               ;   in Loop: Header=BB2_12 Depth=1
	s_andn2_b64 vcc, exec, s[6:7]
	s_cbranch_vccnz .LBB2_47
; %bb.46:                               ;   in Loop: Header=BB2_12 Depth=1
	v_lshlrev_b64 v[15:16], 2, v[13:14]
	v_mul_f32_e32 v18, s18, v32
	v_add_co_u32_e32 v15, vcc, v30, v15
	v_addc_co_u32_e32 v16, vcc, v31, v16, vcc
	global_load_dword v17, v[15:16], off
	s_waitcnt vmcnt(0)
	v_fmac_f32_e32 v18, s28, v17
	global_store_dword v[15:16], v18, off
.LBB2_47:                               ;   in Loop: Header=BB2_12 Depth=1
	s_mov_b64 s[6:7], 0
.LBB2_48:                               ;   in Loop: Header=BB2_12 Depth=1
	s_andn2_b64 vcc, exec, s[6:7]
	s_cbranch_vccnz .LBB2_11
; %bb.49:                               ;   in Loop: Header=BB2_12 Depth=1
	v_mul_f32_e32 v15, s18, v32
	s_mov_b64 s[6:7], -1
	s_and_b64 vcc, exec, s[16:17]
	s_cbranch_vccz .LBB2_51
; %bb.50:                               ;   in Loop: Header=BB2_12 Depth=1
	v_mul_lo_u32 v18, v14, s10
	v_mul_lo_u32 v19, v13, s11
	v_mad_u64_u32 v[16:17], s[6:7], v13, s10, 0
	s_mov_b64 s[6:7], 0
	v_add3_u32 v17, v17, v19, v18
	v_lshlrev_b64 v[16:17], 2, v[16:17]
	v_add_co_u32_e32 v16, vcc, v27, v16
	v_addc_co_u32_e32 v17, vcc, v28, v17, vcc
	global_store_dword v[16:17], v15, off
.LBB2_51:                               ;   in Loop: Header=BB2_12 Depth=1
	s_andn2_b64 vcc, exec, s[6:7]
	s_cbranch_vccnz .LBB2_11
; %bb.52:                               ;   in Loop: Header=BB2_12 Depth=1
	v_lshlrev_b64 v[13:14], 2, v[13:14]
	v_add_co_u32_e32 v13, vcc, v30, v13
	v_addc_co_u32_e32 v14, vcc, v31, v14, vcc
	global_store_dword v[13:14], v15, off
	s_branch .LBB2_11
.LBB2_53:
	s_endpgm
	.section	.rodata,"a",@progbits
	.p2align	6, 0x0
	.amdhsa_kernel _ZN9rocsparseL29bsrmm_general_blockdim_kernelILj32ELj32EllffffEEvb20rocsparse_direction_T2_S2_llNS_24const_host_device_scalarIT6_EEPKT1_PKS2_PKT3_S2_PKT4_llS5_PT5_ll16rocsparse_order_21rocsparse_index_base_b
		.amdhsa_group_segment_fixed_size 8192
		.amdhsa_private_segment_fixed_size 0
		.amdhsa_kernarg_size 148
		.amdhsa_user_sgpr_count 6
		.amdhsa_user_sgpr_private_segment_buffer 1
		.amdhsa_user_sgpr_dispatch_ptr 0
		.amdhsa_user_sgpr_queue_ptr 0
		.amdhsa_user_sgpr_kernarg_segment_ptr 1
		.amdhsa_user_sgpr_dispatch_id 0
		.amdhsa_user_sgpr_flat_scratch_init 0
		.amdhsa_user_sgpr_private_segment_size 0
		.amdhsa_uses_dynamic_stack 0
		.amdhsa_system_sgpr_private_segment_wavefront_offset 0
		.amdhsa_system_sgpr_workgroup_id_x 1
		.amdhsa_system_sgpr_workgroup_id_y 1
		.amdhsa_system_sgpr_workgroup_id_z 0
		.amdhsa_system_sgpr_workgroup_info 0
		.amdhsa_system_vgpr_workitem_id 1
		.amdhsa_next_free_vgpr 55
		.amdhsa_next_free_sgpr 61
		.amdhsa_reserve_vcc 1
		.amdhsa_reserve_flat_scratch 0
		.amdhsa_float_round_mode_32 0
		.amdhsa_float_round_mode_16_64 0
		.amdhsa_float_denorm_mode_32 3
		.amdhsa_float_denorm_mode_16_64 3
		.amdhsa_dx10_clamp 1
		.amdhsa_ieee_mode 1
		.amdhsa_fp16_overflow 0
		.amdhsa_exception_fp_ieee_invalid_op 0
		.amdhsa_exception_fp_denorm_src 0
		.amdhsa_exception_fp_ieee_div_zero 0
		.amdhsa_exception_fp_ieee_overflow 0
		.amdhsa_exception_fp_ieee_underflow 0
		.amdhsa_exception_fp_ieee_inexact 0
		.amdhsa_exception_int_div_zero 0
	.end_amdhsa_kernel
	.section	.text._ZN9rocsparseL29bsrmm_general_blockdim_kernelILj32ELj32EllffffEEvb20rocsparse_direction_T2_S2_llNS_24const_host_device_scalarIT6_EEPKT1_PKS2_PKT3_S2_PKT4_llS5_PT5_ll16rocsparse_order_21rocsparse_index_base_b,"axG",@progbits,_ZN9rocsparseL29bsrmm_general_blockdim_kernelILj32ELj32EllffffEEvb20rocsparse_direction_T2_S2_llNS_24const_host_device_scalarIT6_EEPKT1_PKS2_PKT3_S2_PKT4_llS5_PT5_ll16rocsparse_order_21rocsparse_index_base_b,comdat
.Lfunc_end2:
	.size	_ZN9rocsparseL29bsrmm_general_blockdim_kernelILj32ELj32EllffffEEvb20rocsparse_direction_T2_S2_llNS_24const_host_device_scalarIT6_EEPKT1_PKS2_PKT3_S2_PKT4_llS5_PT5_ll16rocsparse_order_21rocsparse_index_base_b, .Lfunc_end2-_ZN9rocsparseL29bsrmm_general_blockdim_kernelILj32ELj32EllffffEEvb20rocsparse_direction_T2_S2_llNS_24const_host_device_scalarIT6_EEPKT1_PKS2_PKT3_S2_PKT4_llS5_PT5_ll16rocsparse_order_21rocsparse_index_base_b
                                        ; -- End function
	.set _ZN9rocsparseL29bsrmm_general_blockdim_kernelILj32ELj32EllffffEEvb20rocsparse_direction_T2_S2_llNS_24const_host_device_scalarIT6_EEPKT1_PKS2_PKT3_S2_PKT4_llS5_PT5_ll16rocsparse_order_21rocsparse_index_base_b.num_vgpr, 55
	.set _ZN9rocsparseL29bsrmm_general_blockdim_kernelILj32ELj32EllffffEEvb20rocsparse_direction_T2_S2_llNS_24const_host_device_scalarIT6_EEPKT1_PKS2_PKT3_S2_PKT4_llS5_PT5_ll16rocsparse_order_21rocsparse_index_base_b.num_agpr, 0
	.set _ZN9rocsparseL29bsrmm_general_blockdim_kernelILj32ELj32EllffffEEvb20rocsparse_direction_T2_S2_llNS_24const_host_device_scalarIT6_EEPKT1_PKS2_PKT3_S2_PKT4_llS5_PT5_ll16rocsparse_order_21rocsparse_index_base_b.numbered_sgpr, 53
	.set _ZN9rocsparseL29bsrmm_general_blockdim_kernelILj32ELj32EllffffEEvb20rocsparse_direction_T2_S2_llNS_24const_host_device_scalarIT6_EEPKT1_PKS2_PKT3_S2_PKT4_llS5_PT5_ll16rocsparse_order_21rocsparse_index_base_b.num_named_barrier, 0
	.set _ZN9rocsparseL29bsrmm_general_blockdim_kernelILj32ELj32EllffffEEvb20rocsparse_direction_T2_S2_llNS_24const_host_device_scalarIT6_EEPKT1_PKS2_PKT3_S2_PKT4_llS5_PT5_ll16rocsparse_order_21rocsparse_index_base_b.private_seg_size, 0
	.set _ZN9rocsparseL29bsrmm_general_blockdim_kernelILj32ELj32EllffffEEvb20rocsparse_direction_T2_S2_llNS_24const_host_device_scalarIT6_EEPKT1_PKS2_PKT3_S2_PKT4_llS5_PT5_ll16rocsparse_order_21rocsparse_index_base_b.uses_vcc, 1
	.set _ZN9rocsparseL29bsrmm_general_blockdim_kernelILj32ELj32EllffffEEvb20rocsparse_direction_T2_S2_llNS_24const_host_device_scalarIT6_EEPKT1_PKS2_PKT3_S2_PKT4_llS5_PT5_ll16rocsparse_order_21rocsparse_index_base_b.uses_flat_scratch, 0
	.set _ZN9rocsparseL29bsrmm_general_blockdim_kernelILj32ELj32EllffffEEvb20rocsparse_direction_T2_S2_llNS_24const_host_device_scalarIT6_EEPKT1_PKS2_PKT3_S2_PKT4_llS5_PT5_ll16rocsparse_order_21rocsparse_index_base_b.has_dyn_sized_stack, 0
	.set _ZN9rocsparseL29bsrmm_general_blockdim_kernelILj32ELj32EllffffEEvb20rocsparse_direction_T2_S2_llNS_24const_host_device_scalarIT6_EEPKT1_PKS2_PKT3_S2_PKT4_llS5_PT5_ll16rocsparse_order_21rocsparse_index_base_b.has_recursion, 0
	.set _ZN9rocsparseL29bsrmm_general_blockdim_kernelILj32ELj32EllffffEEvb20rocsparse_direction_T2_S2_llNS_24const_host_device_scalarIT6_EEPKT1_PKS2_PKT3_S2_PKT4_llS5_PT5_ll16rocsparse_order_21rocsparse_index_base_b.has_indirect_call, 0
	.section	.AMDGPU.csdata,"",@progbits
; Kernel info:
; codeLenInByte = 2228
; TotalNumSgprs: 57
; NumVgprs: 55
; ScratchSize: 0
; MemoryBound: 0
; FloatMode: 240
; IeeeMode: 1
; LDSByteSize: 8192 bytes/workgroup (compile time only)
; SGPRBlocks: 8
; VGPRBlocks: 13
; NumSGPRsForWavesPerEU: 65
; NumVGPRsForWavesPerEU: 55
; Occupancy: 4
; WaveLimiterHint : 1
; COMPUTE_PGM_RSRC2:SCRATCH_EN: 0
; COMPUTE_PGM_RSRC2:USER_SGPR: 6
; COMPUTE_PGM_RSRC2:TRAP_HANDLER: 0
; COMPUTE_PGM_RSRC2:TGID_X_EN: 1
; COMPUTE_PGM_RSRC2:TGID_Y_EN: 1
; COMPUTE_PGM_RSRC2:TGID_Z_EN: 0
; COMPUTE_PGM_RSRC2:TIDIG_COMP_CNT: 1
	.section	.text._ZN9rocsparseL29bsrmm_general_blockdim_kernelILj32ELj32EiiddddEEvb20rocsparse_direction_T2_S2_llNS_24const_host_device_scalarIT6_EEPKT1_PKS2_PKT3_S2_PKT4_llS5_PT5_ll16rocsparse_order_21rocsparse_index_base_b,"axG",@progbits,_ZN9rocsparseL29bsrmm_general_blockdim_kernelILj32ELj32EiiddddEEvb20rocsparse_direction_T2_S2_llNS_24const_host_device_scalarIT6_EEPKT1_PKS2_PKT3_S2_PKT4_llS5_PT5_ll16rocsparse_order_21rocsparse_index_base_b,comdat
	.globl	_ZN9rocsparseL29bsrmm_general_blockdim_kernelILj32ELj32EiiddddEEvb20rocsparse_direction_T2_S2_llNS_24const_host_device_scalarIT6_EEPKT1_PKS2_PKT3_S2_PKT4_llS5_PT5_ll16rocsparse_order_21rocsparse_index_base_b ; -- Begin function _ZN9rocsparseL29bsrmm_general_blockdim_kernelILj32ELj32EiiddddEEvb20rocsparse_direction_T2_S2_llNS_24const_host_device_scalarIT6_EEPKT1_PKS2_PKT3_S2_PKT4_llS5_PT5_ll16rocsparse_order_21rocsparse_index_base_b
	.p2align	8
	.type	_ZN9rocsparseL29bsrmm_general_blockdim_kernelILj32ELj32EiiddddEEvb20rocsparse_direction_T2_S2_llNS_24const_host_device_scalarIT6_EEPKT1_PKS2_PKT3_S2_PKT4_llS5_PT5_ll16rocsparse_order_21rocsparse_index_base_b,@function
_ZN9rocsparseL29bsrmm_general_blockdim_kernelILj32ELj32EiiddddEEvb20rocsparse_direction_T2_S2_llNS_24const_host_device_scalarIT6_EEPKT1_PKS2_PKT3_S2_PKT4_llS5_PT5_ll16rocsparse_order_21rocsparse_index_base_b: ; @_ZN9rocsparseL29bsrmm_general_blockdim_kernelILj32ELj32EiiddddEEvb20rocsparse_direction_T2_S2_llNS_24const_host_device_scalarIT6_EEPKT1_PKS2_PKT3_S2_PKT4_llS5_PT5_ll16rocsparse_order_21rocsparse_index_base_b
; %bb.0:
	s_load_dwordx4 s[8:11], s[4:5], 0x80
	s_load_dwordx2 s[12:13], s[4:5], 0x20
	s_load_dwordx2 s[2:3], s[4:5], 0x60
	s_mov_b32 s0, s7
	s_waitcnt lgkmcnt(0)
	s_bitcmp1_b32 s10, 0
	s_cselect_b64 s[14:15], -1, 0
	v_mov_b32_e32 v2, s12
	s_xor_b64 s[10:11], s[14:15], -1
	s_and_b64 vcc, exec, s[14:15]
	v_mov_b32_e32 v3, s13
	s_cbranch_vccnz .LBB3_2
; %bb.1:
	v_mov_b32_e32 v2, s12
	v_mov_b32_e32 v3, s13
	flat_load_dwordx2 v[2:3], v[2:3]
.LBB3_2:
	v_mov_b32_e32 v5, s3
	s_andn2_b64 vcc, exec, s[10:11]
	v_mov_b32_e32 v4, s2
	s_cbranch_vccnz .LBB3_4
; %bb.3:
	v_mov_b32_e32 v5, s3
	v_mov_b32_e32 v4, s2
	flat_load_dwordx2 v[4:5], v[4:5]
.LBB3_4:
	s_waitcnt vmcnt(0) lgkmcnt(0)
	v_cmp_neq_f64_e32 vcc, 0, v[2:3]
	v_cmp_neq_f64_e64 s[2:3], 1.0, v[4:5]
	s_or_b64 s[2:3], vcc, s[2:3]
	s_and_saveexec_b64 s[10:11], s[2:3]
	s_cbranch_execz .LBB3_54
; %bb.5:
	s_load_dwordx4 s[24:27], s[4:5], 0x0
	s_load_dwordx2 s[10:11], s[4:5], 0x28
	s_mov_b32 s33, 0
	s_mov_b32 s38, 0
	s_waitcnt lgkmcnt(0)
	s_cmp_lt_i32 s6, s26
	s_cselect_b64 s[2:3], -1, 0
	s_cmp_ge_i32 s6, s26
	s_cbranch_scc0 .LBB3_8
; %bb.6:
	s_andn2_b64 vcc, exec, s[2:3]
	s_cbranch_vccz .LBB3_9
.LBB3_7:
	s_load_dword s39, s[4:5], 0x40
	s_waitcnt lgkmcnt(0)
	s_cmp_lt_i32 s39, 1
	s_cbranch_scc0 .LBB3_10
	s_branch .LBB3_54
.LBB3_8:
	s_ashr_i32 s7, s6, 31
	s_lshl_b64 s[12:13], s[6:7], 2
	s_add_u32 s12, s10, s12
	s_addc_u32 s13, s11, s13
	s_load_dword s1, s[12:13], 0x0
	s_waitcnt lgkmcnt(0)
	s_sub_i32 s38, s1, s9
	s_andn2_b64 vcc, exec, s[2:3]
	s_cbranch_vccnz .LBB3_7
.LBB3_9:
	s_ashr_i32 s7, s6, 31
	s_lshl_b64 s[12:13], s[6:7], 2
	s_add_u32 s10, s10, s12
	s_addc_u32 s11, s11, s13
	s_load_dword s1, s[10:11], 0x4
	s_waitcnt lgkmcnt(0)
	s_sub_i32 s33, s1, s9
	s_load_dword s39, s[4:5], 0x40
	s_waitcnt lgkmcnt(0)
	s_cmp_lt_i32 s39, 1
	s_cbranch_scc1 .LBB3_54
.LBB3_10:
	s_load_dwordx4 s[12:15], s[4:5], 0x68
	s_load_dwordx4 s[16:19], s[4:5], 0x30
	;; [unrolled: 1-line block ×3, first 2 shown]
	v_lshl_add_u32 v6, s0, 5, v1
	v_ashrrev_i32_e32 v7, 31, v6
	s_mul_i32 s40, s39, s6
	v_lshlrev_b64 v[8:9], 3, v[6:7]
	s_waitcnt lgkmcnt(0)
	v_mul_lo_u32 v17, s22, v7
	v_mul_lo_u32 v18, s23, v6
	v_mad_u64_u32 v[10:11], s[6:7], s22, v6, 0
	v_mov_b32_e32 v15, s21
	v_add_co_u32_e32 v14, vcc, s20, v8
	v_add3_u32 v11, v11, v17, v18
	v_lshlrev_b64 v[10:11], 3, v[10:11]
	v_addc_co_u32_e32 v15, vcc, v15, v9, vcc
	s_bitcmp1_b32 s24, 0
	v_mov_b32_e32 v18, s21
	v_add_co_u32_e32 v17, vcc, s20, v10
	s_cselect_b64 s[4:5], -1, 0
	v_cmp_gt_i32_e64 s[0:1], s27, v6
	v_addc_co_u32_e32 v18, vcc, v18, v11, vcc
	v_mul_lo_u32 v11, s14, v7
	v_mul_lo_u32 v21, s15, v6
	v_mad_u64_u32 v[6:7], s[6:7], s14, v6, 0
	s_xor_b64 s[10:11], s[4:5], -1
	s_cmp_lt_i32 s38, s33
	s_cselect_b64 s[4:5], -1, 0
	s_cmp_lg_u32 s25, 0
	s_cselect_b64 s[20:21], -1, 0
	s_and_b64 s[24:25], s[2:3], s[0:1]
	v_cmp_neq_f64_e64 s[2:3], 0, v[4:5]
	v_add3_u32 v7, v7, v11, v21
	v_mov_b32_e32 v10, s13
	v_add_co_u32_e32 v19, vcc, s12, v8
	v_lshlrev_b64 v[6:7], 3, v[6:7]
	v_addc_co_u32_e32 v20, vcc, v10, v9, vcc
	s_mul_i32 s6, s38, s39
	v_mov_b32_e32 v8, s13
	v_add_co_u32_e32 v21, vcc, s12, v6
	v_add_u32_e32 v6, s6, v0
	v_addc_co_u32_e32 v22, vcc, v8, v7, vcc
	v_mad_u64_u32 v[6:7], s[6:7], s39, v6, v[1:2]
	v_lshlrev_b32_e32 v13, 3, v0
	v_or_b32_e32 v12, 0x2000, v13
	v_lshlrev_b32_e32 v16, 8, v1
	s_cmp_lg_u32 s8, 1
	v_cndmask_b32_e64 v7, 0, 1, s[4:5]
	s_mov_b32 s41, 0
	s_cselect_b64 s[26:27], -1, 0
	s_lshl_b32 s8, s39, 5
	s_mul_i32 s42, s39, s39
	v_cmp_ne_u32_e64 s[4:5], 1, v7
	v_add_u32_e32 v23, v12, v16
	s_branch .LBB3_12
.LBB3_11:                               ;   in Loop: Header=BB3_12 Depth=1
	s_or_b64 exec, exec, s[6:7]
	s_add_i32 s41, s41, 32
	s_cmp_lt_i32 s41, s39
	v_add_u32_e32 v6, s8, v6
	s_cbranch_scc0 .LBB3_54
.LBB3_12:                               ; =>This Loop Header: Depth=1
                                        ;     Child Loop BB3_15 Depth 2
                                        ;       Child Loop BB3_17 Depth 3
	v_add_u32_e32 v7, s41, v0
	v_mov_b32_e32 v8, 0
	v_mov_b32_e32 v9, 0
	s_and_b64 vcc, exec, s[4:5]
	v_cmp_gt_i32_e64 s[6:7], s39, v7
	s_cbranch_vccnz .LBB3_43
; %bb.13:                               ;   in Loop: Header=BB3_12 Depth=1
	v_mov_b32_e32 v8, 0
	v_mov_b32_e32 v9, 0
	;; [unrolled: 1-line block ×3, first 2 shown]
	s_mov_b32 s12, s38
	s_branch .LBB3_15
.LBB3_14:                               ;   in Loop: Header=BB3_15 Depth=2
	s_add_i32 s12, s12, 1
	s_cmp_ge_i32 s12, s33
	v_add_u32_e32 v24, s42, v24
	s_cbranch_scc1 .LBB3_43
.LBB3_15:                               ;   Parent Loop BB3_12 Depth=1
                                        ; =>  This Loop Header: Depth=2
                                        ;       Child Loop BB3_17 Depth 3
	s_ashr_i32 s13, s12, 31
	s_lshl_b64 s[28:29], s[12:13], 2
	s_add_u32 s28, s16, s28
	s_addc_u32 s29, s17, s29
	s_load_dword s28, s[28:29], 0x0
	s_mul_i32 s13, s12, s39
	s_mov_b32 s43, 0
	s_waitcnt lgkmcnt(0)
	s_sub_i32 s28, s28, s9
	s_mul_i32 s28, s28, s39
	v_add_u32_e32 v25, s28, v0
	s_branch .LBB3_17
.LBB3_16:                               ;   in Loop: Header=BB3_17 Depth=3
	s_or_b64 exec, exec, s[30:31]
	v_add_u32_e32 v10, v13, v16
	s_waitcnt vmcnt(0)
	ds_write_b64 v10, v[11:12]
	s_waitcnt lgkmcnt(0)
	s_barrier
	ds_read2_b64 v[26:29], v13 offset1:32
	ds_read_b128 v[30:33], v16 offset:8192
	ds_read_b128 v[34:37], v16 offset:8208
	v_add_u32_e32 v12, 0x800, v13
	s_add_i32 s43, s43, 32
	s_cmp_ge_i32 s43, s39
	s_waitcnt lgkmcnt(1)
	v_fma_f64 v[8:9], v[26:27], v[30:31], v[8:9]
	v_fma_f64 v[26:27], v[28:29], v[32:33], v[8:9]
	ds_read2_b64 v[8:11], v13 offset0:64 offset1:96
	s_waitcnt lgkmcnt(0)
	v_fma_f64 v[8:9], v[8:9], v[34:35], v[26:27]
	v_fma_f64 v[34:35], v[10:11], v[36:37], v[8:9]
	ds_read2_b64 v[8:11], v13 offset0:128 offset1:160
	ds_read_b128 v[26:29], v16 offset:8224
	ds_read_b128 v[30:33], v16 offset:8240
	s_waitcnt lgkmcnt(1)
	v_fma_f64 v[8:9], v[8:9], v[26:27], v[34:35]
	v_fma_f64 v[26:27], v[10:11], v[28:29], v[8:9]
	ds_read2_b64 v[8:11], v13 offset0:192 offset1:224
	s_waitcnt lgkmcnt(0)
	v_fma_f64 v[8:9], v[8:9], v[30:31], v[26:27]
	v_fma_f64 v[34:35], v[10:11], v[32:33], v[8:9]
	ds_read2_b64 v[8:11], v12 offset1:32
	ds_read_b128 v[26:29], v16 offset:8256
	ds_read_b128 v[30:33], v16 offset:8272
	s_waitcnt lgkmcnt(1)
	v_fma_f64 v[8:9], v[8:9], v[26:27], v[34:35]
	v_fma_f64 v[26:27], v[10:11], v[28:29], v[8:9]
	ds_read2_b64 v[8:11], v12 offset0:64 offset1:96
	s_waitcnt lgkmcnt(0)
	v_fma_f64 v[8:9], v[8:9], v[30:31], v[26:27]
	v_fma_f64 v[34:35], v[10:11], v[32:33], v[8:9]
	ds_read2_b64 v[8:11], v12 offset0:128 offset1:160
	ds_read_b128 v[26:29], v16 offset:8288
	ds_read_b128 v[30:33], v16 offset:8304
	s_waitcnt lgkmcnt(1)
	v_fma_f64 v[8:9], v[8:9], v[26:27], v[34:35]
	v_fma_f64 v[26:27], v[10:11], v[28:29], v[8:9]
	ds_read2_b64 v[8:11], v12 offset0:192 offset1:224
	v_add_u32_e32 v12, 0x1000, v13
	s_waitcnt lgkmcnt(0)
	v_fma_f64 v[8:9], v[8:9], v[30:31], v[26:27]
	v_fma_f64 v[34:35], v[10:11], v[32:33], v[8:9]
	ds_read2_b64 v[8:11], v12 offset1:32
	ds_read_b128 v[26:29], v16 offset:8320
	ds_read_b128 v[30:33], v16 offset:8336
	s_waitcnt lgkmcnt(1)
	v_fma_f64 v[8:9], v[8:9], v[26:27], v[34:35]
	v_fma_f64 v[26:27], v[10:11], v[28:29], v[8:9]
	ds_read2_b64 v[8:11], v12 offset0:64 offset1:96
	s_waitcnt lgkmcnt(0)
	v_fma_f64 v[8:9], v[8:9], v[30:31], v[26:27]
	v_fma_f64 v[34:35], v[10:11], v[32:33], v[8:9]
	ds_read2_b64 v[8:11], v12 offset0:128 offset1:160
	ds_read_b128 v[26:29], v16 offset:8352
	ds_read_b128 v[30:33], v16 offset:8368
	s_waitcnt lgkmcnt(1)
	v_fma_f64 v[8:9], v[8:9], v[26:27], v[34:35]
	v_fma_f64 v[26:27], v[10:11], v[28:29], v[8:9]
	ds_read2_b64 v[8:11], v12 offset0:192 offset1:224
	v_add_u32_e32 v12, 0x1800, v13
	s_waitcnt lgkmcnt(0)
	v_fma_f64 v[8:9], v[8:9], v[30:31], v[26:27]
	v_fma_f64 v[34:35], v[10:11], v[32:33], v[8:9]
	ds_read2_b64 v[8:11], v12 offset1:32
	ds_read_b128 v[26:29], v16 offset:8384
	ds_read_b128 v[30:33], v16 offset:8400
	s_waitcnt lgkmcnt(1)
	v_fma_f64 v[8:9], v[8:9], v[26:27], v[34:35]
	v_fma_f64 v[26:27], v[10:11], v[28:29], v[8:9]
	ds_read2_b64 v[8:11], v12 offset0:64 offset1:96
	s_waitcnt lgkmcnt(0)
	v_fma_f64 v[8:9], v[8:9], v[30:31], v[26:27]
	v_fma_f64 v[34:35], v[10:11], v[32:33], v[8:9]
	ds_read2_b64 v[8:11], v12 offset0:128 offset1:160
	ds_read_b128 v[26:29], v16 offset:8416
	ds_read_b128 v[30:33], v16 offset:8432
	s_waitcnt lgkmcnt(1)
	v_fma_f64 v[8:9], v[8:9], v[26:27], v[34:35]
	v_fma_f64 v[26:27], v[10:11], v[28:29], v[8:9]
	ds_read2_b64 v[8:11], v12 offset0:192 offset1:224
	s_waitcnt lgkmcnt(0)
	s_barrier
	v_fma_f64 v[8:9], v[8:9], v[30:31], v[26:27]
	v_fma_f64 v[8:9], v[10:11], v[32:33], v[8:9]
	s_cbranch_scc1 .LBB3_14
.LBB3_17:                               ;   Parent Loop BB3_12 Depth=1
                                        ;     Parent Loop BB3_15 Depth=2
                                        ; =>    This Inner Loop Header: Depth=3
	s_mov_b64 s[28:29], -1
	s_and_b64 vcc, exec, s[10:11]
                                        ; implicit-def: $vgpr10_vgpr11
	s_cbranch_vccnz .LBB3_26
; %bb.18:                               ;   in Loop: Header=BB3_17 Depth=3
	s_andn2_b64 vcc, exec, s[28:29]
	s_cbranch_vccz .LBB3_31
.LBB3_19:                               ;   in Loop: Header=BB3_17 Depth=3
	s_and_b64 vcc, exec, s[20:21]
	s_waitcnt vmcnt(0)
	ds_write_b64 v23, v[10:11]
	s_cbranch_vccz .LBB3_36
.LBB3_20:                               ;   in Loop: Header=BB3_17 Depth=3
	s_mov_b64 s[30:31], 0
	s_mov_b64 s[28:29], 0
                                        ; implicit-def: $vgpr10
	s_and_saveexec_b64 s[34:35], s[6:7]
	s_cbranch_execz .LBB3_24
; %bb.21:                               ;   in Loop: Header=BB3_17 Depth=3
	v_add_u32_e32 v11, s43, v1
	v_cmp_gt_i32_e32 vcc, s39, v11
                                        ; implicit-def: $vgpr10
	s_and_saveexec_b64 s[36:37], vcc
	s_xor_b64 s[36:37], exec, s[36:37]
; %bb.22:                               ;   in Loop: Header=BB3_17 Depth=3
	v_add_u32_e32 v10, s13, v11
	s_mov_b64 s[28:29], exec
	v_mad_u64_u32 v[10:11], s[44:45], v10, s39, v[7:8]
; %bb.23:                               ;   in Loop: Header=BB3_17 Depth=3
	s_or_b64 exec, exec, s[36:37]
	s_and_b64 s[28:29], s[28:29], exec
.LBB3_24:                               ;   in Loop: Header=BB3_17 Depth=3
	s_or_b64 exec, exec, s[34:35]
	s_and_b64 vcc, exec, s[30:31]
	s_cbranch_vccnz .LBB3_37
.LBB3_25:                               ;   in Loop: Header=BB3_17 Depth=3
	v_mov_b32_e32 v11, 0
	v_mov_b32_e32 v12, 0
	s_and_saveexec_b64 s[30:31], s[28:29]
	s_cbranch_execz .LBB3_16
	s_branch .LBB3_42
.LBB3_26:                               ;   in Loop: Header=BB3_17 Depth=3
	v_mov_b32_e32 v10, 0
	v_mov_b32_e32 v11, 0
	s_and_saveexec_b64 s[28:29], s[0:1]
	s_cbranch_execz .LBB3_30
; %bb.27:                               ;   in Loop: Header=BB3_17 Depth=3
	v_add_u32_e32 v12, s43, v0
	v_mov_b32_e32 v10, 0
	v_mov_b32_e32 v11, 0
	v_cmp_gt_i32_e32 vcc, s39, v12
	s_and_saveexec_b64 s[30:31], vcc
	s_cbranch_execz .LBB3_29
; %bb.28:                               ;   in Loop: Header=BB3_17 Depth=3
	v_add_u32_e32 v10, s43, v25
	v_ashrrev_i32_e32 v12, 31, v10
	v_mul_lo_u32 v26, s23, v10
	v_mad_u64_u32 v[10:11], s[34:35], s22, v10, 0
	v_mul_lo_u32 v12, s22, v12
	v_add3_u32 v11, v11, v12, v26
	v_lshlrev_b64 v[10:11], 3, v[10:11]
	v_add_co_u32_e32 v10, vcc, v14, v10
	v_addc_co_u32_e32 v11, vcc, v15, v11, vcc
	global_load_dwordx2 v[10:11], v[10:11], off
.LBB3_29:                               ;   in Loop: Header=BB3_17 Depth=3
	s_or_b64 exec, exec, s[30:31]
.LBB3_30:                               ;   in Loop: Header=BB3_17 Depth=3
	s_or_b64 exec, exec, s[28:29]
	s_cbranch_execnz .LBB3_19
.LBB3_31:                               ;   in Loop: Header=BB3_17 Depth=3
	s_waitcnt vmcnt(0)
	v_mov_b32_e32 v10, 0
	v_mov_b32_e32 v11, 0
	s_and_saveexec_b64 s[28:29], s[0:1]
	s_cbranch_execz .LBB3_35
; %bb.32:                               ;   in Loop: Header=BB3_17 Depth=3
	v_add_u32_e32 v12, s43, v0
	v_mov_b32_e32 v10, 0
	v_mov_b32_e32 v11, 0
	v_cmp_gt_i32_e32 vcc, s39, v12
	s_and_saveexec_b64 s[30:31], vcc
	s_cbranch_execz .LBB3_34
; %bb.33:                               ;   in Loop: Header=BB3_17 Depth=3
	v_add_u32_e32 v10, s43, v25
	v_ashrrev_i32_e32 v11, 31, v10
	v_lshlrev_b64 v[10:11], 3, v[10:11]
	v_add_co_u32_e32 v10, vcc, v17, v10
	v_addc_co_u32_e32 v11, vcc, v18, v11, vcc
	global_load_dwordx2 v[10:11], v[10:11], off
.LBB3_34:                               ;   in Loop: Header=BB3_17 Depth=3
	s_or_b64 exec, exec, s[30:31]
.LBB3_35:                               ;   in Loop: Header=BB3_17 Depth=3
	s_or_b64 exec, exec, s[28:29]
	s_and_b64 vcc, exec, s[20:21]
	s_waitcnt vmcnt(0)
	ds_write_b64 v23, v[10:11]
	s_cbranch_vccnz .LBB3_20
.LBB3_36:                               ;   in Loop: Header=BB3_17 Depth=3
	s_mov_b64 s[28:29], 0
                                        ; implicit-def: $vgpr10
	s_cbranch_execz .LBB3_25
.LBB3_37:                               ;   in Loop: Header=BB3_17 Depth=3
                                        ; implicit-def: $vgpr10
	s_and_saveexec_b64 s[30:31], s[6:7]
	s_cbranch_execz .LBB3_41
; %bb.38:                               ;   in Loop: Header=BB3_17 Depth=3
	v_add_u32_e32 v10, s43, v1
	v_cmp_gt_i32_e32 vcc, s39, v10
	s_mov_b64 s[34:35], s[28:29]
                                        ; implicit-def: $vgpr10
	s_and_saveexec_b64 s[36:37], vcc
; %bb.39:                               ;   in Loop: Header=BB3_17 Depth=3
	v_add_u32_e32 v10, s43, v24
	s_or_b64 s[34:35], s[28:29], exec
; %bb.40:                               ;   in Loop: Header=BB3_17 Depth=3
	s_or_b64 exec, exec, s[36:37]
	s_andn2_b64 s[28:29], s[28:29], exec
	s_and_b64 s[34:35], s[34:35], exec
	s_or_b64 s[28:29], s[28:29], s[34:35]
.LBB3_41:                               ;   in Loop: Header=BB3_17 Depth=3
	s_or_b64 exec, exec, s[30:31]
	v_mov_b32_e32 v11, 0
	v_mov_b32_e32 v12, 0
	s_and_saveexec_b64 s[30:31], s[28:29]
	s_cbranch_execz .LBB3_16
.LBB3_42:                               ;   in Loop: Header=BB3_17 Depth=3
	v_ashrrev_i32_e32 v11, 31, v10
	v_lshlrev_b64 v[10:11], 3, v[10:11]
	v_mov_b32_e32 v12, s19
	v_add_co_u32_e32 v10, vcc, s18, v10
	v_addc_co_u32_e32 v11, vcc, v12, v11, vcc
	global_load_dwordx2 v[11:12], v[10:11], off
	s_branch .LBB3_16
.LBB3_43:                               ;   in Loop: Header=BB3_12 Depth=1
	v_cmp_gt_i32_e32 vcc, s39, v7
	s_and_b64 s[12:13], s[24:25], vcc
	s_and_saveexec_b64 s[6:7], s[12:13]
	s_cbranch_execz .LBB3_11
; %bb.44:                               ;   in Loop: Header=BB3_12 Depth=1
	v_add_u32_e32 v10, s40, v7
	v_ashrrev_i32_e32 v11, 31, v10
	s_and_saveexec_b64 s[12:13], s[2:3]
	s_xor_b64 s[12:13], exec, s[12:13]
	s_cbranch_execz .LBB3_49
; %bb.45:                               ;   in Loop: Header=BB3_12 Depth=1
	s_mov_b64 s[28:29], -1
	s_and_b64 vcc, exec, s[26:27]
	s_cbranch_vccz .LBB3_47
; %bb.46:                               ;   in Loop: Header=BB3_12 Depth=1
	v_mul_lo_u32 v7, s15, v10
	v_mul_lo_u32 v12, s14, v11
	v_mad_u64_u32 v[24:25], s[28:29], s14, v10, 0
	v_mul_f64 v[28:29], v[2:3], v[8:9]
	s_mov_b64 s[28:29], 0
	v_add3_u32 v25, v25, v12, v7
	v_lshlrev_b64 v[24:25], 3, v[24:25]
	v_add_co_u32_e32 v24, vcc, v19, v24
	v_addc_co_u32_e32 v25, vcc, v20, v25, vcc
	global_load_dwordx2 v[26:27], v[24:25], off
	s_waitcnt vmcnt(0)
	v_fma_f64 v[26:27], v[4:5], v[26:27], v[28:29]
	global_store_dwordx2 v[24:25], v[26:27], off
.LBB3_47:                               ;   in Loop: Header=BB3_12 Depth=1
	s_andn2_b64 vcc, exec, s[28:29]
	s_cbranch_vccnz .LBB3_49
; %bb.48:                               ;   in Loop: Header=BB3_12 Depth=1
	v_lshlrev_b64 v[10:11], 3, v[10:11]
	v_mul_f64 v[7:8], v[2:3], v[8:9]
	v_add_co_u32_e32 v10, vcc, v21, v10
	v_addc_co_u32_e32 v11, vcc, v22, v11, vcc
	global_load_dwordx2 v[24:25], v[10:11], off
	s_waitcnt vmcnt(0)
	v_fma_f64 v[7:8], v[4:5], v[24:25], v[7:8]
	global_store_dwordx2 v[10:11], v[7:8], off
                                        ; implicit-def: $vgpr8_vgpr9
                                        ; implicit-def: $vgpr10
.LBB3_49:                               ;   in Loop: Header=BB3_12 Depth=1
	s_andn2_saveexec_b64 s[12:13], s[12:13]
	s_cbranch_execz .LBB3_11
; %bb.50:                               ;   in Loop: Header=BB3_12 Depth=1
	v_mul_f64 v[7:8], v[2:3], v[8:9]
	s_mov_b64 s[12:13], -1
	s_and_b64 vcc, exec, s[26:27]
	s_cbranch_vccz .LBB3_52
; %bb.51:                               ;   in Loop: Header=BB3_12 Depth=1
	v_mul_lo_u32 v9, s15, v10
	v_mul_lo_u32 v12, s14, v11
	v_mad_u64_u32 v[24:25], s[12:13], s14, v10, 0
	s_mov_b64 s[12:13], 0
	v_add3_u32 v25, v25, v12, v9
	v_lshlrev_b64 v[24:25], 3, v[24:25]
	v_add_co_u32_e32 v24, vcc, v19, v24
	v_addc_co_u32_e32 v25, vcc, v20, v25, vcc
	global_store_dwordx2 v[24:25], v[7:8], off
.LBB3_52:                               ;   in Loop: Header=BB3_12 Depth=1
	s_andn2_b64 vcc, exec, s[12:13]
	s_cbranch_vccnz .LBB3_11
; %bb.53:                               ;   in Loop: Header=BB3_12 Depth=1
	v_lshlrev_b64 v[9:10], 3, v[10:11]
	v_add_co_u32_e32 v9, vcc, v21, v9
	v_addc_co_u32_e32 v10, vcc, v22, v10, vcc
	global_store_dwordx2 v[9:10], v[7:8], off
	s_branch .LBB3_11
.LBB3_54:
	s_endpgm
	.section	.rodata,"a",@progbits
	.p2align	6, 0x0
	.amdhsa_kernel _ZN9rocsparseL29bsrmm_general_blockdim_kernelILj32ELj32EiiddddEEvb20rocsparse_direction_T2_S2_llNS_24const_host_device_scalarIT6_EEPKT1_PKS2_PKT3_S2_PKT4_llS5_PT5_ll16rocsparse_order_21rocsparse_index_base_b
		.amdhsa_group_segment_fixed_size 16384
		.amdhsa_private_segment_fixed_size 0
		.amdhsa_kernarg_size 140
		.amdhsa_user_sgpr_count 6
		.amdhsa_user_sgpr_private_segment_buffer 1
		.amdhsa_user_sgpr_dispatch_ptr 0
		.amdhsa_user_sgpr_queue_ptr 0
		.amdhsa_user_sgpr_kernarg_segment_ptr 1
		.amdhsa_user_sgpr_dispatch_id 0
		.amdhsa_user_sgpr_flat_scratch_init 0
		.amdhsa_user_sgpr_private_segment_size 0
		.amdhsa_uses_dynamic_stack 0
		.amdhsa_system_sgpr_private_segment_wavefront_offset 0
		.amdhsa_system_sgpr_workgroup_id_x 1
		.amdhsa_system_sgpr_workgroup_id_y 1
		.amdhsa_system_sgpr_workgroup_id_z 0
		.amdhsa_system_sgpr_workgroup_info 0
		.amdhsa_system_vgpr_workitem_id 1
		.amdhsa_next_free_vgpr 38
		.amdhsa_next_free_sgpr 61
		.amdhsa_reserve_vcc 1
		.amdhsa_reserve_flat_scratch 0
		.amdhsa_float_round_mode_32 0
		.amdhsa_float_round_mode_16_64 0
		.amdhsa_float_denorm_mode_32 3
		.amdhsa_float_denorm_mode_16_64 3
		.amdhsa_dx10_clamp 1
		.amdhsa_ieee_mode 1
		.amdhsa_fp16_overflow 0
		.amdhsa_exception_fp_ieee_invalid_op 0
		.amdhsa_exception_fp_denorm_src 0
		.amdhsa_exception_fp_ieee_div_zero 0
		.amdhsa_exception_fp_ieee_overflow 0
		.amdhsa_exception_fp_ieee_underflow 0
		.amdhsa_exception_fp_ieee_inexact 0
		.amdhsa_exception_int_div_zero 0
	.end_amdhsa_kernel
	.section	.text._ZN9rocsparseL29bsrmm_general_blockdim_kernelILj32ELj32EiiddddEEvb20rocsparse_direction_T2_S2_llNS_24const_host_device_scalarIT6_EEPKT1_PKS2_PKT3_S2_PKT4_llS5_PT5_ll16rocsparse_order_21rocsparse_index_base_b,"axG",@progbits,_ZN9rocsparseL29bsrmm_general_blockdim_kernelILj32ELj32EiiddddEEvb20rocsparse_direction_T2_S2_llNS_24const_host_device_scalarIT6_EEPKT1_PKS2_PKT3_S2_PKT4_llS5_PT5_ll16rocsparse_order_21rocsparse_index_base_b,comdat
.Lfunc_end3:
	.size	_ZN9rocsparseL29bsrmm_general_blockdim_kernelILj32ELj32EiiddddEEvb20rocsparse_direction_T2_S2_llNS_24const_host_device_scalarIT6_EEPKT1_PKS2_PKT3_S2_PKT4_llS5_PT5_ll16rocsparse_order_21rocsparse_index_base_b, .Lfunc_end3-_ZN9rocsparseL29bsrmm_general_blockdim_kernelILj32ELj32EiiddddEEvb20rocsparse_direction_T2_S2_llNS_24const_host_device_scalarIT6_EEPKT1_PKS2_PKT3_S2_PKT4_llS5_PT5_ll16rocsparse_order_21rocsparse_index_base_b
                                        ; -- End function
	.set _ZN9rocsparseL29bsrmm_general_blockdim_kernelILj32ELj32EiiddddEEvb20rocsparse_direction_T2_S2_llNS_24const_host_device_scalarIT6_EEPKT1_PKS2_PKT3_S2_PKT4_llS5_PT5_ll16rocsparse_order_21rocsparse_index_base_b.num_vgpr, 38
	.set _ZN9rocsparseL29bsrmm_general_blockdim_kernelILj32ELj32EiiddddEEvb20rocsparse_direction_T2_S2_llNS_24const_host_device_scalarIT6_EEPKT1_PKS2_PKT3_S2_PKT4_llS5_PT5_ll16rocsparse_order_21rocsparse_index_base_b.num_agpr, 0
	.set _ZN9rocsparseL29bsrmm_general_blockdim_kernelILj32ELj32EiiddddEEvb20rocsparse_direction_T2_S2_llNS_24const_host_device_scalarIT6_EEPKT1_PKS2_PKT3_S2_PKT4_llS5_PT5_ll16rocsparse_order_21rocsparse_index_base_b.numbered_sgpr, 46
	.set _ZN9rocsparseL29bsrmm_general_blockdim_kernelILj32ELj32EiiddddEEvb20rocsparse_direction_T2_S2_llNS_24const_host_device_scalarIT6_EEPKT1_PKS2_PKT3_S2_PKT4_llS5_PT5_ll16rocsparse_order_21rocsparse_index_base_b.num_named_barrier, 0
	.set _ZN9rocsparseL29bsrmm_general_blockdim_kernelILj32ELj32EiiddddEEvb20rocsparse_direction_T2_S2_llNS_24const_host_device_scalarIT6_EEPKT1_PKS2_PKT3_S2_PKT4_llS5_PT5_ll16rocsparse_order_21rocsparse_index_base_b.private_seg_size, 0
	.set _ZN9rocsparseL29bsrmm_general_blockdim_kernelILj32ELj32EiiddddEEvb20rocsparse_direction_T2_S2_llNS_24const_host_device_scalarIT6_EEPKT1_PKS2_PKT3_S2_PKT4_llS5_PT5_ll16rocsparse_order_21rocsparse_index_base_b.uses_vcc, 1
	.set _ZN9rocsparseL29bsrmm_general_blockdim_kernelILj32ELj32EiiddddEEvb20rocsparse_direction_T2_S2_llNS_24const_host_device_scalarIT6_EEPKT1_PKS2_PKT3_S2_PKT4_llS5_PT5_ll16rocsparse_order_21rocsparse_index_base_b.uses_flat_scratch, 0
	.set _ZN9rocsparseL29bsrmm_general_blockdim_kernelILj32ELj32EiiddddEEvb20rocsparse_direction_T2_S2_llNS_24const_host_device_scalarIT6_EEPKT1_PKS2_PKT3_S2_PKT4_llS5_PT5_ll16rocsparse_order_21rocsparse_index_base_b.has_dyn_sized_stack, 0
	.set _ZN9rocsparseL29bsrmm_general_blockdim_kernelILj32ELj32EiiddddEEvb20rocsparse_direction_T2_S2_llNS_24const_host_device_scalarIT6_EEPKT1_PKS2_PKT3_S2_PKT4_llS5_PT5_ll16rocsparse_order_21rocsparse_index_base_b.has_recursion, 0
	.set _ZN9rocsparseL29bsrmm_general_blockdim_kernelILj32ELj32EiiddddEEvb20rocsparse_direction_T2_S2_llNS_24const_host_device_scalarIT6_EEPKT1_PKS2_PKT3_S2_PKT4_llS5_PT5_ll16rocsparse_order_21rocsparse_index_base_b.has_indirect_call, 0
	.section	.AMDGPU.csdata,"",@progbits
; Kernel info:
; codeLenInByte = 2172
; TotalNumSgprs: 50
; NumVgprs: 38
; ScratchSize: 0
; MemoryBound: 0
; FloatMode: 240
; IeeeMode: 1
; LDSByteSize: 16384 bytes/workgroup (compile time only)
; SGPRBlocks: 8
; VGPRBlocks: 9
; NumSGPRsForWavesPerEU: 65
; NumVGPRsForWavesPerEU: 38
; Occupancy: 6
; WaveLimiterHint : 1
; COMPUTE_PGM_RSRC2:SCRATCH_EN: 0
; COMPUTE_PGM_RSRC2:USER_SGPR: 6
; COMPUTE_PGM_RSRC2:TRAP_HANDLER: 0
; COMPUTE_PGM_RSRC2:TGID_X_EN: 1
; COMPUTE_PGM_RSRC2:TGID_Y_EN: 1
; COMPUTE_PGM_RSRC2:TGID_Z_EN: 0
; COMPUTE_PGM_RSRC2:TIDIG_COMP_CNT: 1
	.section	.text._ZN9rocsparseL29bsrmm_general_blockdim_kernelILj32ELj32EliddddEEvb20rocsparse_direction_T2_S2_llNS_24const_host_device_scalarIT6_EEPKT1_PKS2_PKT3_S2_PKT4_llS5_PT5_ll16rocsparse_order_21rocsparse_index_base_b,"axG",@progbits,_ZN9rocsparseL29bsrmm_general_blockdim_kernelILj32ELj32EliddddEEvb20rocsparse_direction_T2_S2_llNS_24const_host_device_scalarIT6_EEPKT1_PKS2_PKT3_S2_PKT4_llS5_PT5_ll16rocsparse_order_21rocsparse_index_base_b,comdat
	.globl	_ZN9rocsparseL29bsrmm_general_blockdim_kernelILj32ELj32EliddddEEvb20rocsparse_direction_T2_S2_llNS_24const_host_device_scalarIT6_EEPKT1_PKS2_PKT3_S2_PKT4_llS5_PT5_ll16rocsparse_order_21rocsparse_index_base_b ; -- Begin function _ZN9rocsparseL29bsrmm_general_blockdim_kernelILj32ELj32EliddddEEvb20rocsparse_direction_T2_S2_llNS_24const_host_device_scalarIT6_EEPKT1_PKS2_PKT3_S2_PKT4_llS5_PT5_ll16rocsparse_order_21rocsparse_index_base_b
	.p2align	8
	.type	_ZN9rocsparseL29bsrmm_general_blockdim_kernelILj32ELj32EliddddEEvb20rocsparse_direction_T2_S2_llNS_24const_host_device_scalarIT6_EEPKT1_PKS2_PKT3_S2_PKT4_llS5_PT5_ll16rocsparse_order_21rocsparse_index_base_b,@function
_ZN9rocsparseL29bsrmm_general_blockdim_kernelILj32ELj32EliddddEEvb20rocsparse_direction_T2_S2_llNS_24const_host_device_scalarIT6_EEPKT1_PKS2_PKT3_S2_PKT4_llS5_PT5_ll16rocsparse_order_21rocsparse_index_base_b: ; @_ZN9rocsparseL29bsrmm_general_blockdim_kernelILj32ELj32EliddddEEvb20rocsparse_direction_T2_S2_llNS_24const_host_device_scalarIT6_EEPKT1_PKS2_PKT3_S2_PKT4_llS5_PT5_ll16rocsparse_order_21rocsparse_index_base_b
; %bb.0:
	s_load_dwordx4 s[8:11], s[4:5], 0x80
	s_load_dwordx2 s[12:13], s[4:5], 0x20
	s_load_dwordx2 s[2:3], s[4:5], 0x60
	s_mov_b32 s0, s7
	s_waitcnt lgkmcnt(0)
	s_bitcmp1_b32 s10, 0
	s_cselect_b64 s[14:15], -1, 0
	v_mov_b32_e32 v2, s12
	s_xor_b64 s[10:11], s[14:15], -1
	s_and_b64 vcc, exec, s[14:15]
	v_mov_b32_e32 v3, s13
	s_cbranch_vccnz .LBB4_2
; %bb.1:
	v_mov_b32_e32 v2, s12
	v_mov_b32_e32 v3, s13
	flat_load_dwordx2 v[2:3], v[2:3]
.LBB4_2:
	v_mov_b32_e32 v5, s3
	s_andn2_b64 vcc, exec, s[10:11]
	v_mov_b32_e32 v4, s2
	s_cbranch_vccnz .LBB4_4
; %bb.3:
	v_mov_b32_e32 v5, s3
	v_mov_b32_e32 v4, s2
	flat_load_dwordx2 v[4:5], v[4:5]
.LBB4_4:
	s_waitcnt vmcnt(0) lgkmcnt(0)
	v_cmp_neq_f64_e32 vcc, 0, v[2:3]
	v_cmp_neq_f64_e64 s[2:3], 1.0, v[4:5]
	s_mov_b64 s[10:11], 0
	s_or_b64 s[2:3], vcc, s[2:3]
	s_and_saveexec_b64 s[12:13], s[2:3]
	s_cbranch_execz .LBB4_50
; %bb.5:
	s_load_dwordx4 s[24:27], s[4:5], 0x0
	s_load_dwordx2 s[12:13], s[4:5], 0x28
	s_waitcnt lgkmcnt(0)
	s_cmp_lt_i32 s6, s26
	s_cselect_b64 s[2:3], -1, 0
	s_cmp_ge_i32 s6, s26
	s_cbranch_scc0 .LBB4_8
; %bb.6:
	s_andn2_b64 vcc, exec, s[2:3]
	s_mov_b64 s[28:29], 0
	s_cbranch_vccz .LBB4_9
.LBB4_7:
	s_load_dword s33, s[4:5], 0x40
	s_waitcnt lgkmcnt(0)
	s_cmp_lt_i32 s33, 1
	s_cbranch_scc0 .LBB4_10
	s_branch .LBB4_50
.LBB4_8:
	s_ashr_i32 s7, s6, 31
	s_lshl_b64 s[10:11], s[6:7], 3
	s_add_u32 s10, s12, s10
	s_addc_u32 s11, s13, s11
	s_load_dwordx2 s[10:11], s[10:11], 0x0
	s_waitcnt lgkmcnt(0)
	s_sub_u32 s10, s10, s9
	s_subb_u32 s11, s11, 0
	s_andn2_b64 vcc, exec, s[2:3]
	s_mov_b64 s[28:29], 0
	s_cbranch_vccnz .LBB4_7
.LBB4_9:
	s_ashr_i32 s7, s6, 31
	s_lshl_b64 s[14:15], s[6:7], 3
	s_add_u32 s12, s12, s14
	s_addc_u32 s13, s13, s15
	s_load_dwordx2 s[12:13], s[12:13], 0x8
	s_waitcnt lgkmcnt(0)
	s_sub_u32 s28, s12, s9
	s_subb_u32 s29, s13, 0
	s_load_dword s33, s[4:5], 0x40
	s_waitcnt lgkmcnt(0)
	s_cmp_lt_i32 s33, 1
	s_cbranch_scc1 .LBB4_50
.LBB4_10:
	s_load_dwordx4 s[12:15], s[4:5], 0x68
	s_load_dwordx4 s[16:19], s[4:5], 0x30
	;; [unrolled: 1-line block ×3, first 2 shown]
	s_bitcmp1_b32 s24, 0
	v_lshl_add_u32 v6, s0, 5, v1
	s_cselect_b64 s[4:5], -1, 0
	v_ashrrev_i32_e32 v7, 31, v6
	s_xor_b64 s[30:31], s[4:5], -1
	s_waitcnt lgkmcnt(0)
	v_mul_lo_u32 v18, s22, v7
	v_mul_lo_u32 v19, s23, v6
	v_mad_u64_u32 v[16:17], s[4:5], s22, v6, 0
	v_lshlrev_b64 v[10:11], 3, v[6:7]
	v_cmp_gt_i32_e64 s[0:1], s27, v6
	v_add3_u32 v17, v17, v18, v19
	v_mul_lo_u32 v20, s14, v7
	v_mul_lo_u32 v21, s15, v6
	v_mad_u64_u32 v[6:7], s[4:5], s14, v6, 0
	v_mov_b32_e32 v14, s21
	v_add_co_u32_e32 v13, vcc, s20, v10
	v_lshlrev_b64 v[16:17], 3, v[16:17]
	v_addc_co_u32_e32 v14, vcc, v14, v11, vcc
	v_mov_b32_e32 v18, s21
	v_add_co_u32_e32 v16, vcc, s20, v16
	v_addc_co_u32_e32 v17, vcc, v18, v17, vcc
	s_cmp_lg_u32 s25, 0
	v_add3_u32 v7, v7, v20, v21
	s_cselect_b64 s[20:21], -1, 0
	s_and_b64 s[24:25], s[2:3], s[0:1]
	v_cmp_neq_f64_e64 s[2:3], 0, v[4:5]
	v_mov_b32_e32 v19, s13
	v_add_co_u32_e32 v18, vcc, s12, v10
	v_lshlrev_b64 v[6:7], 3, v[6:7]
	v_addc_co_u32_e32 v19, vcc, v19, v11, vcc
	v_mov_b32_e32 v8, s28
	v_mov_b32_e32 v10, s13
	v_add_co_u32_e32 v20, vcc, s12, v6
	v_mov_b32_e32 v9, s29
	v_addc_co_u32_e32 v21, vcc, v10, v7, vcc
	v_cmp_lt_i64_e32 vcc, s[10:11], v[8:9]
	v_lshlrev_b32_e32 v12, 3, v0
	v_or_b32_e32 v22, 0x2000, v12
	v_lshlrev_b32_e32 v15, 8, v1
	s_cmp_lg_u32 s8, 1
	v_cndmask_b32_e64 v6, 0, 1, vcc
	s_mul_i32 s42, s33, s6
	s_mov_b32 s43, 0
	s_mul_i32 s44, s33, s33
	s_cselect_b64 s[26:27], -1, 0
	v_cmp_ne_u32_e64 s[4:5], 1, v6
	v_add_u32_e32 v22, v22, v15
	s_branch .LBB4_12
.LBB4_11:                               ;   in Loop: Header=BB4_12 Depth=1
	s_or_b64 exec, exec, s[6:7]
	s_add_i32 s43, s43, 32
	s_cmp_lt_i32 s43, s33
	s_cbranch_scc0 .LBB4_50
.LBB4_12:                               ; =>This Loop Header: Depth=1
                                        ;     Child Loop BB4_15 Depth 2
                                        ;       Child Loop BB4_17 Depth 3
	v_add_u32_e32 v23, s43, v0
	v_mov_b32_e32 v6, 0
	v_mov_b32_e32 v7, 0
	s_and_b64 vcc, exec, s[4:5]
	v_cmp_gt_i32_e64 s[6:7], s33, v23
	s_cbranch_vccnz .LBB4_39
; %bb.13:                               ;   in Loop: Header=BB4_12 Depth=1
	v_mov_b32_e32 v6, 0
	v_mov_b32_e32 v7, 0
	s_mov_b64 s[12:13], s[10:11]
	s_branch .LBB4_15
.LBB4_14:                               ;   in Loop: Header=BB4_15 Depth=2
	s_add_u32 s12, s12, 1
	v_mov_b32_e32 v8, s28
	s_addc_u32 s13, s13, 0
	v_mov_b32_e32 v9, s29
	v_cmp_ge_i64_e32 vcc, s[12:13], v[8:9]
	s_cbranch_vccnz .LBB4_39
.LBB4_15:                               ;   Parent Loop BB4_12 Depth=1
                                        ; =>  This Loop Header: Depth=2
                                        ;       Child Loop BB4_17 Depth 3
	s_lshl_b64 s[34:35], s[12:13], 2
	s_add_u32 s34, s16, s34
	s_addc_u32 s35, s17, s35
	s_load_dword s8, s[34:35], 0x0
	s_mul_i32 s35, s13, s44
	s_mul_hi_u32 s36, s12, s44
	s_mul_i32 s34, s12, s44
	s_add_i32 s35, s36, s35
	s_waitcnt lgkmcnt(0)
	s_sub_i32 s8, s8, s9
	s_lshl_b64 s[34:35], s[34:35], 3
	s_mul_i32 s36, s8, s33
	s_add_u32 s8, s18, s34
	s_addc_u32 s45, s19, s35
	v_add_u32_e32 v24, s36, v0
	s_mov_b32 s46, 0
	s_branch .LBB4_17
.LBB4_16:                               ;   in Loop: Header=BB4_17 Depth=3
	s_or_b64 exec, exec, s[36:37]
	v_add_u32_e32 v8, v12, v15
	s_waitcnt vmcnt(0)
	ds_write_b64 v8, v[10:11]
	s_waitcnt lgkmcnt(0)
	s_barrier
	ds_read2_b64 v[8:11], v12 offset1:32
	ds_read_b128 v[25:28], v15 offset:8192
	ds_read_b128 v[29:32], v15 offset:8208
	v_add_u32_e32 v33, 0x800, v12
	s_add_i32 s46, s46, 32
	s_cmp_ge_i32 s46, s33
	s_waitcnt lgkmcnt(1)
	v_fma_f64 v[6:7], v[8:9], v[25:26], v[6:7]
	v_fma_f64 v[10:11], v[10:11], v[27:28], v[6:7]
	ds_read2_b64 v[6:9], v12 offset0:64 offset1:96
	s_waitcnt lgkmcnt(0)
	v_fma_f64 v[6:7], v[6:7], v[29:30], v[10:11]
	v_fma_f64 v[10:11], v[8:9], v[31:32], v[6:7]
	ds_read2_b64 v[6:9], v12 offset0:128 offset1:160
	ds_read_b128 v[25:28], v15 offset:8224
	ds_read_b128 v[29:32], v15 offset:8240
	s_waitcnt lgkmcnt(1)
	v_fma_f64 v[6:7], v[6:7], v[25:26], v[10:11]
	v_fma_f64 v[10:11], v[8:9], v[27:28], v[6:7]
	ds_read2_b64 v[6:9], v12 offset0:192 offset1:224
	s_waitcnt lgkmcnt(0)
	v_fma_f64 v[6:7], v[6:7], v[29:30], v[10:11]
	v_fma_f64 v[10:11], v[8:9], v[31:32], v[6:7]
	ds_read2_b64 v[6:9], v33 offset1:32
	ds_read_b128 v[25:28], v15 offset:8256
	ds_read_b128 v[29:32], v15 offset:8272
	s_waitcnt lgkmcnt(1)
	v_fma_f64 v[6:7], v[6:7], v[25:26], v[10:11]
	v_fma_f64 v[10:11], v[8:9], v[27:28], v[6:7]
	ds_read2_b64 v[6:9], v33 offset0:64 offset1:96
	s_waitcnt lgkmcnt(0)
	v_fma_f64 v[6:7], v[6:7], v[29:30], v[10:11]
	v_fma_f64 v[10:11], v[8:9], v[31:32], v[6:7]
	ds_read2_b64 v[6:9], v33 offset0:128 offset1:160
	ds_read_b128 v[25:28], v15 offset:8288
	ds_read_b128 v[29:32], v15 offset:8304
	s_waitcnt lgkmcnt(1)
	v_fma_f64 v[6:7], v[6:7], v[25:26], v[10:11]
	v_fma_f64 v[10:11], v[8:9], v[27:28], v[6:7]
	ds_read2_b64 v[6:9], v33 offset0:192 offset1:224
	v_add_u32_e32 v33, 0x1000, v12
	s_waitcnt lgkmcnt(0)
	v_fma_f64 v[6:7], v[6:7], v[29:30], v[10:11]
	v_fma_f64 v[10:11], v[8:9], v[31:32], v[6:7]
	ds_read2_b64 v[6:9], v33 offset1:32
	ds_read_b128 v[25:28], v15 offset:8320
	ds_read_b128 v[29:32], v15 offset:8336
	s_waitcnt lgkmcnt(1)
	v_fma_f64 v[6:7], v[6:7], v[25:26], v[10:11]
	v_fma_f64 v[10:11], v[8:9], v[27:28], v[6:7]
	ds_read2_b64 v[6:9], v33 offset0:64 offset1:96
	s_waitcnt lgkmcnt(0)
	v_fma_f64 v[6:7], v[6:7], v[29:30], v[10:11]
	v_fma_f64 v[10:11], v[8:9], v[31:32], v[6:7]
	ds_read2_b64 v[6:9], v33 offset0:128 offset1:160
	ds_read_b128 v[25:28], v15 offset:8352
	ds_read_b128 v[29:32], v15 offset:8368
	s_waitcnt lgkmcnt(1)
	v_fma_f64 v[6:7], v[6:7], v[25:26], v[10:11]
	v_fma_f64 v[10:11], v[8:9], v[27:28], v[6:7]
	ds_read2_b64 v[6:9], v33 offset0:192 offset1:224
	v_add_u32_e32 v33, 0x1800, v12
	s_waitcnt lgkmcnt(0)
	v_fma_f64 v[6:7], v[6:7], v[29:30], v[10:11]
	v_fma_f64 v[10:11], v[8:9], v[31:32], v[6:7]
	ds_read2_b64 v[6:9], v33 offset1:32
	ds_read_b128 v[25:28], v15 offset:8384
	ds_read_b128 v[29:32], v15 offset:8400
	s_waitcnt lgkmcnt(1)
	v_fma_f64 v[6:7], v[6:7], v[25:26], v[10:11]
	v_fma_f64 v[10:11], v[8:9], v[27:28], v[6:7]
	ds_read2_b64 v[6:9], v33 offset0:64 offset1:96
	s_waitcnt lgkmcnt(0)
	v_fma_f64 v[6:7], v[6:7], v[29:30], v[10:11]
	v_fma_f64 v[10:11], v[8:9], v[31:32], v[6:7]
	ds_read2_b64 v[6:9], v33 offset0:128 offset1:160
	ds_read_b128 v[25:28], v15 offset:8416
	ds_read_b128 v[29:32], v15 offset:8432
	s_waitcnt lgkmcnt(1)
	v_fma_f64 v[6:7], v[6:7], v[25:26], v[10:11]
	v_fma_f64 v[10:11], v[8:9], v[27:28], v[6:7]
	ds_read2_b64 v[6:9], v33 offset0:192 offset1:224
	s_waitcnt lgkmcnt(0)
	s_barrier
	v_fma_f64 v[6:7], v[6:7], v[29:30], v[10:11]
	v_fma_f64 v[6:7], v[8:9], v[31:32], v[6:7]
	s_cbranch_scc1 .LBB4_14
.LBB4_17:                               ;   Parent Loop BB4_12 Depth=1
                                        ;     Parent Loop BB4_15 Depth=2
                                        ; =>    This Inner Loop Header: Depth=3
	s_mov_b64 s[34:35], -1
	s_and_b64 vcc, exec, s[30:31]
                                        ; implicit-def: $vgpr8_vgpr9
	s_cbranch_vccnz .LBB4_26
; %bb.18:                               ;   in Loop: Header=BB4_17 Depth=3
	s_andn2_b64 vcc, exec, s[34:35]
	s_cbranch_vccz .LBB4_31
.LBB4_19:                               ;   in Loop: Header=BB4_17 Depth=3
	s_and_b64 vcc, exec, s[20:21]
	s_waitcnt vmcnt(0)
	ds_write_b64 v22, v[8:9]
	s_cbranch_vccz .LBB4_36
.LBB4_20:                               ;   in Loop: Header=BB4_17 Depth=3
	s_mov_b64 s[36:37], 0
	s_mov_b64 s[34:35], 0
                                        ; implicit-def: $vgpr8
	s_and_saveexec_b64 s[38:39], s[6:7]
	s_cbranch_execz .LBB4_24
; %bb.21:                               ;   in Loop: Header=BB4_17 Depth=3
	v_add_u32_e32 v9, s46, v1
	v_cmp_gt_i32_e32 vcc, s33, v9
                                        ; implicit-def: $vgpr8
	s_and_saveexec_b64 s[40:41], vcc
	s_xor_b64 s[40:41], exec, s[40:41]
; %bb.22:                               ;   in Loop: Header=BB4_17 Depth=3
	s_mov_b64 s[34:35], exec
	v_mul_lo_u32 v8, v9, s33
; %bb.23:                               ;   in Loop: Header=BB4_17 Depth=3
	s_or_b64 exec, exec, s[40:41]
	s_and_b64 s[34:35], s[34:35], exec
.LBB4_24:                               ;   in Loop: Header=BB4_17 Depth=3
	s_or_b64 exec, exec, s[38:39]
	s_and_b64 vcc, exec, s[36:37]
	s_cbranch_vccz .LBB4_37
.LBB4_25:                               ;   in Loop: Header=BB4_17 Depth=3
	v_add_u32_e32 v8, s46, v1
	v_cmp_gt_i32_e32 vcc, s33, v8
	v_mul_lo_u32 v9, v23, s33
	s_and_b64 s[36:37], s[6:7], vcc
	s_andn2_b64 s[34:35], s[34:35], exec
	s_and_b64 s[36:37], s[36:37], exec
	s_or_b64 s[34:35], s[34:35], s[36:37]
	v_mov_b32_e32 v10, 0
	v_mov_b32_e32 v11, 0
	s_and_saveexec_b64 s[36:37], s[34:35]
	s_cbranch_execz .LBB4_16
	s_branch .LBB4_38
.LBB4_26:                               ;   in Loop: Header=BB4_17 Depth=3
	v_mov_b32_e32 v8, 0
	v_mov_b32_e32 v9, 0
	s_and_saveexec_b64 s[34:35], s[0:1]
	s_cbranch_execz .LBB4_30
; %bb.27:                               ;   in Loop: Header=BB4_17 Depth=3
	v_add_u32_e32 v10, s46, v0
	v_mov_b32_e32 v8, 0
	v_mov_b32_e32 v9, 0
	v_cmp_gt_i32_e32 vcc, s33, v10
	s_and_saveexec_b64 s[36:37], vcc
	s_cbranch_execz .LBB4_29
; %bb.28:                               ;   in Loop: Header=BB4_17 Depth=3
	v_add_u32_e32 v8, s46, v24
	v_ashrrev_i32_e32 v10, 31, v8
	v_mul_lo_u32 v11, s23, v8
	v_mad_u64_u32 v[8:9], s[38:39], s22, v8, 0
	v_mul_lo_u32 v10, s22, v10
	v_add3_u32 v9, v9, v10, v11
	v_lshlrev_b64 v[8:9], 3, v[8:9]
	v_add_co_u32_e32 v8, vcc, v13, v8
	v_addc_co_u32_e32 v9, vcc, v14, v9, vcc
	global_load_dwordx2 v[8:9], v[8:9], off
.LBB4_29:                               ;   in Loop: Header=BB4_17 Depth=3
	s_or_b64 exec, exec, s[36:37]
.LBB4_30:                               ;   in Loop: Header=BB4_17 Depth=3
	s_or_b64 exec, exec, s[34:35]
	s_cbranch_execnz .LBB4_19
.LBB4_31:                               ;   in Loop: Header=BB4_17 Depth=3
	s_waitcnt vmcnt(0)
	v_mov_b32_e32 v8, 0
	v_mov_b32_e32 v9, 0
	s_and_saveexec_b64 s[34:35], s[0:1]
	s_cbranch_execz .LBB4_35
; %bb.32:                               ;   in Loop: Header=BB4_17 Depth=3
	v_add_u32_e32 v10, s46, v0
	v_mov_b32_e32 v8, 0
	v_mov_b32_e32 v9, 0
	v_cmp_gt_i32_e32 vcc, s33, v10
	s_and_saveexec_b64 s[36:37], vcc
	s_cbranch_execz .LBB4_34
; %bb.33:                               ;   in Loop: Header=BB4_17 Depth=3
	v_add_u32_e32 v8, s46, v24
	v_ashrrev_i32_e32 v9, 31, v8
	v_lshlrev_b64 v[8:9], 3, v[8:9]
	v_add_co_u32_e32 v8, vcc, v16, v8
	v_addc_co_u32_e32 v9, vcc, v17, v9, vcc
	global_load_dwordx2 v[8:9], v[8:9], off
.LBB4_34:                               ;   in Loop: Header=BB4_17 Depth=3
	s_or_b64 exec, exec, s[36:37]
.LBB4_35:                               ;   in Loop: Header=BB4_17 Depth=3
	s_or_b64 exec, exec, s[34:35]
	s_and_b64 vcc, exec, s[20:21]
	s_waitcnt vmcnt(0)
	ds_write_b64 v22, v[8:9]
	s_cbranch_vccnz .LBB4_20
.LBB4_36:                               ;   in Loop: Header=BB4_17 Depth=3
	s_mov_b64 s[34:35], 0
                                        ; implicit-def: $vgpr8
	s_cbranch_execnz .LBB4_25
.LBB4_37:                               ;   in Loop: Header=BB4_17 Depth=3
	v_mov_b32_e32 v9, v23
	v_mov_b32_e32 v10, 0
	;; [unrolled: 1-line block ×3, first 2 shown]
	s_and_saveexec_b64 s[36:37], s[34:35]
	s_cbranch_execz .LBB4_16
.LBB4_38:                               ;   in Loop: Header=BB4_17 Depth=3
	v_ashrrev_i32_e32 v10, 31, v9
	v_lshlrev_b64 v[9:10], 3, v[9:10]
	v_mov_b32_e32 v11, s45
	v_add_co_u32_e32 v25, vcc, s8, v9
	v_ashrrev_i32_e32 v9, 31, v8
	v_lshlrev_b64 v[8:9], 3, v[8:9]
	v_addc_co_u32_e32 v10, vcc, v11, v10, vcc
	v_add_co_u32_e32 v8, vcc, v25, v8
	v_addc_co_u32_e32 v9, vcc, v10, v9, vcc
	global_load_dwordx2 v[10:11], v[8:9], off
	s_branch .LBB4_16
.LBB4_39:                               ;   in Loop: Header=BB4_12 Depth=1
	v_cmp_gt_i32_e32 vcc, s33, v23
	s_and_b64 s[12:13], s[24:25], vcc
	s_and_saveexec_b64 s[6:7], s[12:13]
	s_cbranch_execz .LBB4_11
; %bb.40:                               ;   in Loop: Header=BB4_12 Depth=1
	v_add_u32_e32 v8, s42, v23
	v_ashrrev_i32_e32 v9, 31, v8
	s_and_saveexec_b64 s[12:13], s[2:3]
	s_xor_b64 s[12:13], exec, s[12:13]
	s_cbranch_execz .LBB4_45
; %bb.41:                               ;   in Loop: Header=BB4_12 Depth=1
	s_mov_b64 s[34:35], -1
	s_and_b64 vcc, exec, s[26:27]
	s_cbranch_vccz .LBB4_43
; %bb.42:                               ;   in Loop: Header=BB4_12 Depth=1
	v_mul_lo_u32 v23, s15, v8
	v_mul_lo_u32 v24, s14, v9
	v_mad_u64_u32 v[10:11], s[34:35], s14, v8, 0
	v_mul_f64 v[25:26], v[2:3], v[6:7]
	s_mov_b64 s[34:35], 0
	v_add3_u32 v11, v11, v24, v23
	v_lshlrev_b64 v[10:11], 3, v[10:11]
	v_add_co_u32_e32 v10, vcc, v18, v10
	v_addc_co_u32_e32 v11, vcc, v19, v11, vcc
	global_load_dwordx2 v[23:24], v[10:11], off
	s_waitcnt vmcnt(0)
	v_fma_f64 v[23:24], v[4:5], v[23:24], v[25:26]
	global_store_dwordx2 v[10:11], v[23:24], off
.LBB4_43:                               ;   in Loop: Header=BB4_12 Depth=1
	s_andn2_b64 vcc, exec, s[34:35]
	s_cbranch_vccnz .LBB4_45
; %bb.44:                               ;   in Loop: Header=BB4_12 Depth=1
	v_lshlrev_b64 v[8:9], 3, v[8:9]
	v_mul_f64 v[6:7], v[2:3], v[6:7]
	v_add_co_u32_e32 v8, vcc, v20, v8
	v_addc_co_u32_e32 v9, vcc, v21, v9, vcc
	global_load_dwordx2 v[10:11], v[8:9], off
	s_waitcnt vmcnt(0)
	v_fma_f64 v[6:7], v[4:5], v[10:11], v[6:7]
	global_store_dwordx2 v[8:9], v[6:7], off
                                        ; implicit-def: $vgpr6_vgpr7
                                        ; implicit-def: $vgpr8
.LBB4_45:                               ;   in Loop: Header=BB4_12 Depth=1
	s_andn2_saveexec_b64 s[12:13], s[12:13]
	s_cbranch_execz .LBB4_11
; %bb.46:                               ;   in Loop: Header=BB4_12 Depth=1
	v_mul_f64 v[6:7], v[2:3], v[6:7]
	s_mov_b64 s[12:13], -1
	s_and_b64 vcc, exec, s[26:27]
	s_cbranch_vccz .LBB4_48
; %bb.47:                               ;   in Loop: Header=BB4_12 Depth=1
	v_mul_lo_u32 v23, s15, v8
	v_mul_lo_u32 v24, s14, v9
	v_mad_u64_u32 v[10:11], s[12:13], s14, v8, 0
	s_mov_b64 s[12:13], 0
	v_add3_u32 v11, v11, v24, v23
	v_lshlrev_b64 v[10:11], 3, v[10:11]
	v_add_co_u32_e32 v10, vcc, v18, v10
	v_addc_co_u32_e32 v11, vcc, v19, v11, vcc
	global_store_dwordx2 v[10:11], v[6:7], off
.LBB4_48:                               ;   in Loop: Header=BB4_12 Depth=1
	s_andn2_b64 vcc, exec, s[12:13]
	s_cbranch_vccnz .LBB4_11
; %bb.49:                               ;   in Loop: Header=BB4_12 Depth=1
	v_lshlrev_b64 v[8:9], 3, v[8:9]
	v_add_co_u32_e32 v8, vcc, v20, v8
	v_addc_co_u32_e32 v9, vcc, v21, v9, vcc
	global_store_dwordx2 v[8:9], v[6:7], off
	s_branch .LBB4_11
.LBB4_50:
	s_endpgm
	.section	.rodata,"a",@progbits
	.p2align	6, 0x0
	.amdhsa_kernel _ZN9rocsparseL29bsrmm_general_blockdim_kernelILj32ELj32EliddddEEvb20rocsparse_direction_T2_S2_llNS_24const_host_device_scalarIT6_EEPKT1_PKS2_PKT3_S2_PKT4_llS5_PT5_ll16rocsparse_order_21rocsparse_index_base_b
		.amdhsa_group_segment_fixed_size 16384
		.amdhsa_private_segment_fixed_size 0
		.amdhsa_kernarg_size 140
		.amdhsa_user_sgpr_count 6
		.amdhsa_user_sgpr_private_segment_buffer 1
		.amdhsa_user_sgpr_dispatch_ptr 0
		.amdhsa_user_sgpr_queue_ptr 0
		.amdhsa_user_sgpr_kernarg_segment_ptr 1
		.amdhsa_user_sgpr_dispatch_id 0
		.amdhsa_user_sgpr_flat_scratch_init 0
		.amdhsa_user_sgpr_private_segment_size 0
		.amdhsa_uses_dynamic_stack 0
		.amdhsa_system_sgpr_private_segment_wavefront_offset 0
		.amdhsa_system_sgpr_workgroup_id_x 1
		.amdhsa_system_sgpr_workgroup_id_y 1
		.amdhsa_system_sgpr_workgroup_id_z 0
		.amdhsa_system_sgpr_workgroup_info 0
		.amdhsa_system_vgpr_workitem_id 1
		.amdhsa_next_free_vgpr 34
		.amdhsa_next_free_sgpr 61
		.amdhsa_reserve_vcc 1
		.amdhsa_reserve_flat_scratch 0
		.amdhsa_float_round_mode_32 0
		.amdhsa_float_round_mode_16_64 0
		.amdhsa_float_denorm_mode_32 3
		.amdhsa_float_denorm_mode_16_64 3
		.amdhsa_dx10_clamp 1
		.amdhsa_ieee_mode 1
		.amdhsa_fp16_overflow 0
		.amdhsa_exception_fp_ieee_invalid_op 0
		.amdhsa_exception_fp_denorm_src 0
		.amdhsa_exception_fp_ieee_div_zero 0
		.amdhsa_exception_fp_ieee_overflow 0
		.amdhsa_exception_fp_ieee_underflow 0
		.amdhsa_exception_fp_ieee_inexact 0
		.amdhsa_exception_int_div_zero 0
	.end_amdhsa_kernel
	.section	.text._ZN9rocsparseL29bsrmm_general_blockdim_kernelILj32ELj32EliddddEEvb20rocsparse_direction_T2_S2_llNS_24const_host_device_scalarIT6_EEPKT1_PKS2_PKT3_S2_PKT4_llS5_PT5_ll16rocsparse_order_21rocsparse_index_base_b,"axG",@progbits,_ZN9rocsparseL29bsrmm_general_blockdim_kernelILj32ELj32EliddddEEvb20rocsparse_direction_T2_S2_llNS_24const_host_device_scalarIT6_EEPKT1_PKS2_PKT3_S2_PKT4_llS5_PT5_ll16rocsparse_order_21rocsparse_index_base_b,comdat
.Lfunc_end4:
	.size	_ZN9rocsparseL29bsrmm_general_blockdim_kernelILj32ELj32EliddddEEvb20rocsparse_direction_T2_S2_llNS_24const_host_device_scalarIT6_EEPKT1_PKS2_PKT3_S2_PKT4_llS5_PT5_ll16rocsparse_order_21rocsparse_index_base_b, .Lfunc_end4-_ZN9rocsparseL29bsrmm_general_blockdim_kernelILj32ELj32EliddddEEvb20rocsparse_direction_T2_S2_llNS_24const_host_device_scalarIT6_EEPKT1_PKS2_PKT3_S2_PKT4_llS5_PT5_ll16rocsparse_order_21rocsparse_index_base_b
                                        ; -- End function
	.set _ZN9rocsparseL29bsrmm_general_blockdim_kernelILj32ELj32EliddddEEvb20rocsparse_direction_T2_S2_llNS_24const_host_device_scalarIT6_EEPKT1_PKS2_PKT3_S2_PKT4_llS5_PT5_ll16rocsparse_order_21rocsparse_index_base_b.num_vgpr, 34
	.set _ZN9rocsparseL29bsrmm_general_blockdim_kernelILj32ELj32EliddddEEvb20rocsparse_direction_T2_S2_llNS_24const_host_device_scalarIT6_EEPKT1_PKS2_PKT3_S2_PKT4_llS5_PT5_ll16rocsparse_order_21rocsparse_index_base_b.num_agpr, 0
	.set _ZN9rocsparseL29bsrmm_general_blockdim_kernelILj32ELj32EliddddEEvb20rocsparse_direction_T2_S2_llNS_24const_host_device_scalarIT6_EEPKT1_PKS2_PKT3_S2_PKT4_llS5_PT5_ll16rocsparse_order_21rocsparse_index_base_b.numbered_sgpr, 47
	.set _ZN9rocsparseL29bsrmm_general_blockdim_kernelILj32ELj32EliddddEEvb20rocsparse_direction_T2_S2_llNS_24const_host_device_scalarIT6_EEPKT1_PKS2_PKT3_S2_PKT4_llS5_PT5_ll16rocsparse_order_21rocsparse_index_base_b.num_named_barrier, 0
	.set _ZN9rocsparseL29bsrmm_general_blockdim_kernelILj32ELj32EliddddEEvb20rocsparse_direction_T2_S2_llNS_24const_host_device_scalarIT6_EEPKT1_PKS2_PKT3_S2_PKT4_llS5_PT5_ll16rocsparse_order_21rocsparse_index_base_b.private_seg_size, 0
	.set _ZN9rocsparseL29bsrmm_general_blockdim_kernelILj32ELj32EliddddEEvb20rocsparse_direction_T2_S2_llNS_24const_host_device_scalarIT6_EEPKT1_PKS2_PKT3_S2_PKT4_llS5_PT5_ll16rocsparse_order_21rocsparse_index_base_b.uses_vcc, 1
	.set _ZN9rocsparseL29bsrmm_general_blockdim_kernelILj32ELj32EliddddEEvb20rocsparse_direction_T2_S2_llNS_24const_host_device_scalarIT6_EEPKT1_PKS2_PKT3_S2_PKT4_llS5_PT5_ll16rocsparse_order_21rocsparse_index_base_b.uses_flat_scratch, 0
	.set _ZN9rocsparseL29bsrmm_general_blockdim_kernelILj32ELj32EliddddEEvb20rocsparse_direction_T2_S2_llNS_24const_host_device_scalarIT6_EEPKT1_PKS2_PKT3_S2_PKT4_llS5_PT5_ll16rocsparse_order_21rocsparse_index_base_b.has_dyn_sized_stack, 0
	.set _ZN9rocsparseL29bsrmm_general_blockdim_kernelILj32ELj32EliddddEEvb20rocsparse_direction_T2_S2_llNS_24const_host_device_scalarIT6_EEPKT1_PKS2_PKT3_S2_PKT4_llS5_PT5_ll16rocsparse_order_21rocsparse_index_base_b.has_recursion, 0
	.set _ZN9rocsparseL29bsrmm_general_blockdim_kernelILj32ELj32EliddddEEvb20rocsparse_direction_T2_S2_llNS_24const_host_device_scalarIT6_EEPKT1_PKS2_PKT3_S2_PKT4_llS5_PT5_ll16rocsparse_order_21rocsparse_index_base_b.has_indirect_call, 0
	.section	.AMDGPU.csdata,"",@progbits
; Kernel info:
; codeLenInByte = 2188
; TotalNumSgprs: 51
; NumVgprs: 34
; ScratchSize: 0
; MemoryBound: 0
; FloatMode: 240
; IeeeMode: 1
; LDSByteSize: 16384 bytes/workgroup (compile time only)
; SGPRBlocks: 8
; VGPRBlocks: 8
; NumSGPRsForWavesPerEU: 65
; NumVGPRsForWavesPerEU: 34
; Occupancy: 7
; WaveLimiterHint : 1
; COMPUTE_PGM_RSRC2:SCRATCH_EN: 0
; COMPUTE_PGM_RSRC2:USER_SGPR: 6
; COMPUTE_PGM_RSRC2:TRAP_HANDLER: 0
; COMPUTE_PGM_RSRC2:TGID_X_EN: 1
; COMPUTE_PGM_RSRC2:TGID_Y_EN: 1
; COMPUTE_PGM_RSRC2:TGID_Z_EN: 0
; COMPUTE_PGM_RSRC2:TIDIG_COMP_CNT: 1
	.section	.text._ZN9rocsparseL29bsrmm_general_blockdim_kernelILj32ELj32EllddddEEvb20rocsparse_direction_T2_S2_llNS_24const_host_device_scalarIT6_EEPKT1_PKS2_PKT3_S2_PKT4_llS5_PT5_ll16rocsparse_order_21rocsparse_index_base_b,"axG",@progbits,_ZN9rocsparseL29bsrmm_general_blockdim_kernelILj32ELj32EllddddEEvb20rocsparse_direction_T2_S2_llNS_24const_host_device_scalarIT6_EEPKT1_PKS2_PKT3_S2_PKT4_llS5_PT5_ll16rocsparse_order_21rocsparse_index_base_b,comdat
	.globl	_ZN9rocsparseL29bsrmm_general_blockdim_kernelILj32ELj32EllddddEEvb20rocsparse_direction_T2_S2_llNS_24const_host_device_scalarIT6_EEPKT1_PKS2_PKT3_S2_PKT4_llS5_PT5_ll16rocsparse_order_21rocsparse_index_base_b ; -- Begin function _ZN9rocsparseL29bsrmm_general_blockdim_kernelILj32ELj32EllddddEEvb20rocsparse_direction_T2_S2_llNS_24const_host_device_scalarIT6_EEPKT1_PKS2_PKT3_S2_PKT4_llS5_PT5_ll16rocsparse_order_21rocsparse_index_base_b
	.p2align	8
	.type	_ZN9rocsparseL29bsrmm_general_blockdim_kernelILj32ELj32EllddddEEvb20rocsparse_direction_T2_S2_llNS_24const_host_device_scalarIT6_EEPKT1_PKS2_PKT3_S2_PKT4_llS5_PT5_ll16rocsparse_order_21rocsparse_index_base_b,@function
_ZN9rocsparseL29bsrmm_general_blockdim_kernelILj32ELj32EllddddEEvb20rocsparse_direction_T2_S2_llNS_24const_host_device_scalarIT6_EEPKT1_PKS2_PKT3_S2_PKT4_llS5_PT5_ll16rocsparse_order_21rocsparse_index_base_b: ; @_ZN9rocsparseL29bsrmm_general_blockdim_kernelILj32ELj32EllddddEEvb20rocsparse_direction_T2_S2_llNS_24const_host_device_scalarIT6_EEPKT1_PKS2_PKT3_S2_PKT4_llS5_PT5_ll16rocsparse_order_21rocsparse_index_base_b
; %bb.0:
	s_load_dwordx4 s[16:19], s[4:5], 0x88
	s_load_dwordx2 s[10:11], s[4:5], 0x28
	s_load_dwordx2 s[2:3], s[4:5], 0x68
	s_mov_b32 s0, s7
	v_mov_b32_e32 v2, v1
	s_waitcnt lgkmcnt(0)
	s_bitcmp1_b32 s18, 0
	s_cselect_b64 s[12:13], -1, 0
	v_mov_b32_e32 v3, s10
	s_xor_b64 s[8:9], s[12:13], -1
	s_and_b64 vcc, exec, s[12:13]
	v_mov_b32_e32 v4, s11
	s_cbranch_vccnz .LBB5_2
; %bb.1:
	v_mov_b32_e32 v3, s10
	v_mov_b32_e32 v4, s11
	flat_load_dwordx2 v[3:4], v[3:4]
.LBB5_2:
	v_mov_b32_e32 v6, s3
	s_andn2_b64 vcc, exec, s[8:9]
	v_mov_b32_e32 v5, s2
	s_cbranch_vccnz .LBB5_4
; %bb.3:
	v_mov_b32_e32 v6, s3
	v_mov_b32_e32 v5, s2
	flat_load_dwordx2 v[5:6], v[5:6]
.LBB5_4:
	s_waitcnt vmcnt(0) lgkmcnt(0)
	v_cmp_neq_f64_e32 vcc, 0, v[3:4]
	v_cmp_neq_f64_e64 s[2:3], 1.0, v[5:6]
	s_mov_b64 s[18:19], 0
	s_or_b64 s[2:3], vcc, s[2:3]
	s_and_saveexec_b64 s[8:9], s[2:3]
	s_cbranch_execz .LBB5_52
; %bb.5:
	s_load_dwordx4 s[24:27], s[4:5], 0x8
	s_load_dwordx2 s[8:9], s[4:5], 0x30
	s_ashr_i32 s7, s6, 31
	v_mov_b32_e32 v8, s7
	v_mov_b32_e32 v7, s6
	s_waitcnt lgkmcnt(0)
	v_cmp_le_i64_e32 vcc, s[24:25], v[7:8]
	v_cmp_gt_i64_e64 s[2:3], s[24:25], v[7:8]
	s_cbranch_vccz .LBB5_8
; %bb.6:
	s_andn2_b64 vcc, exec, s[2:3]
	s_mov_b64 s[24:25], 0
	s_cbranch_vccz .LBB5_9
.LBB5_7:
	s_load_dwordx2 s[28:29], s[4:5], 0x48
	s_waitcnt lgkmcnt(0)
	v_cmp_lt_i64_e64 s[8:9], s[28:29], 1
	s_and_b64 vcc, exec, s[8:9]
	s_cbranch_vccz .LBB5_10
	s_branch .LBB5_52
.LBB5_8:
	s_lshl_b64 s[10:11], s[6:7], 3
	s_add_u32 s10, s8, s10
	s_addc_u32 s11, s9, s11
	s_load_dwordx2 s[10:11], s[10:11], 0x0
	s_waitcnt lgkmcnt(0)
	s_sub_u32 s18, s10, s17
	s_subb_u32 s19, s11, 0
	s_andn2_b64 vcc, exec, s[2:3]
	s_mov_b64 s[24:25], 0
	s_cbranch_vccnz .LBB5_7
.LBB5_9:
	s_lshl_b64 s[10:11], s[6:7], 3
	s_add_u32 s8, s8, s10
	s_addc_u32 s9, s9, s11
	s_load_dwordx2 s[8:9], s[8:9], 0x8
	s_waitcnt lgkmcnt(0)
	s_sub_u32 s24, s8, s17
	s_subb_u32 s25, s9, 0
	s_load_dwordx2 s[28:29], s[4:5], 0x48
	s_waitcnt lgkmcnt(0)
	v_cmp_lt_i64_e64 s[8:9], s[28:29], 1
	s_and_b64 vcc, exec, s[8:9]
	s_cbranch_vccnz .LBB5_52
.LBB5_10:
	s_load_dwordx4 s[8:11], s[4:5], 0x70
	s_load_dwordx4 s[20:23], s[4:5], 0x50
	;; [unrolled: 1-line block ×3, first 2 shown]
	s_load_dwordx2 s[34:35], s[4:5], 0x0
	v_lshl_add_u32 v15, s0, 5, v2
	v_mov_b32_e32 v16, 0
	v_lshlrev_b64 v[11:12], 3, v[15:16]
	s_waitcnt lgkmcnt(0)
	v_mad_u64_u32 v[13:14], s[4:5], s22, v15, 0
	s_bitcmp1_b32 s34, 0
	s_cselect_b64 s[0:1], -1, 0
	s_xor_b64 s[30:31], s[0:1], -1
	s_mul_i32 s0, s29, s6
	s_mul_hi_u32 s1, s28, s6
	s_add_i32 s33, s1, s0
	v_cmp_gt_i64_e64 s[0:1], s[26:27], v[15:16]
	s_cmp_lg_u32 s35, 0
	s_cselect_b64 s[26:27], -1, 0
	s_and_b64 s[34:35], s[2:3], s[0:1]
	v_mad_u64_u32 v[8:9], s[2:3], s10, v15, 0
	v_mov_b32_e32 v1, s9
	v_add_co_u32_e32 v35, vcc, s8, v11
	v_mad_u64_u32 v[9:10], s[4:5], s11, v15, v[9:10]
	v_mov_b32_e32 v10, v14
	v_mad_u64_u32 v[14:15], s[4:5], s23, v15, v[10:11]
	v_lshlrev_b64 v[8:9], 3, v[8:9]
	v_addc_co_u32_e32 v36, vcc, v1, v12, vcc
	v_mov_b32_e32 v20, s9
	v_add_co_u32_e32 v38, vcc, s8, v8
	v_addc_co_u32_e32 v39, vcc, v20, v9, vcc
	v_lshlrev_b64 v[9:10], 3, v[13:14]
	v_lshlrev_b32_e32 v7, 3, v0
	v_add_co_u32_e32 v9, vcc, v9, v7
	v_addc_co_u32_e32 v10, vcc, 0, v10, vcc
	s_cmp_lg_u32 s16, 1
	v_mov_b32_e32 v13, s21
	v_add_co_u32_e32 v9, vcc, s20, v9
	s_mul_i32 s4, s18, s29
	s_mul_hi_u32 s5, s18, s28
	s_mov_b32 s49, s17
	s_cselect_b64 s[16:17], -1, 0
	v_addc_co_u32_e32 v10, vcc, v13, v10, vcc
	s_add_i32 s4, s5, s4
	s_mul_i32 s5, s19, s28
	v_add_co_u32_e32 v11, vcc, s20, v11
	s_add_i32 s5, s4, s5
	s_mul_i32 s4, s18, s28
	v_addc_co_u32_e32 v12, vcc, v13, v12, vcc
	s_lshl_b64 s[4:5], s[4:5], 3
	v_mov_b32_e32 v20, s5
	v_add_co_u32_e32 v13, vcc, s4, v7
	v_addc_co_u32_e32 v14, vcc, 0, v20, vcc
	v_lshlrev_b32_e32 v15, 3, v2
	s_mul_i32 s48, s28, s6
	v_mul_lo_u32 v21, s28, v14
	v_mul_lo_u32 v22, s29, v13
	v_mad_u64_u32 v[13:14], s[6:7], s28, v13, v[15:16]
	v_mov_b32_e32 v1, v16
	v_mov_b32_e32 v8, v16
	v_add3_u32 v14, v22, v14, v21
	v_mov_b32_e32 v16, s15
	v_add_co_u32_e32 v13, vcc, s14, v13
	v_addc_co_u32_e32 v14, vcc, v16, v14, vcc
	v_add_co_u32_e32 v15, vcc, s4, v15
	s_mul_i32 s6, s28, s29
	s_mul_hi_u32 s5, s28, s28
	v_addc_co_u32_e32 v16, vcc, 0, v20, vcc
	s_add_i32 s7, s5, s6
	v_mul_lo_u32 v20, s28, v16
	v_mul_lo_u32 v21, s29, v15
	v_mad_u64_u32 v[15:16], s[4:5], s28, v15, v[7:8]
	v_cmp_neq_f64_e64 s[2:3], 0, v[5:6]
	v_mov_b32_e32 v17, s24
	v_add3_u32 v8, v21, v16, v20
	v_mov_b32_e32 v16, s15
	v_add_co_u32_e32 v15, vcc, s14, v15
	v_mov_b32_e32 v18, s25
	v_addc_co_u32_e32 v16, vcc, v16, v8, vcc
	v_cmp_lt_i64_e32 vcc, s[18:19], v[17:18]
	v_or_b32_e32 v19, 0x2000, v7
	v_lshlrev_b32_e32 v37, 8, v2
	s_add_i32 s5, s7, s6
	s_mul_i32 s4, s28, s28
	v_cndmask_b32_e64 v17, 0, 1, vcc
	s_mov_b64 s[36:37], 0
	s_lshl_b64 s[20:21], s[28:29], 3
	s_lshl_b64 s[38:39], s[22:23], 3
	;; [unrolled: 1-line block ×5, first 2 shown]
	v_add_u32_e32 v8, v19, v37
	v_cmp_ne_u32_e64 s[4:5], 1, v17
	s_movk_i32 s50, 0x100
	s_branch .LBB5_12
.LBB5_11:                               ;   in Loop: Header=BB5_12 Depth=1
	s_or_b64 exec, exec, s[6:7]
	v_mov_b32_e32 v17, s41
	v_add_co_u32_e32 v13, vcc, s40, v13
	s_add_u32 s36, s36, 32
	v_addc_co_u32_e32 v14, vcc, v14, v17, vcc
	v_mov_b32_e32 v17, s28
	s_addc_u32 s37, s37, 0
	v_mov_b32_e32 v18, s29
	v_add_co_u32_e32 v15, vcc, 0x100, v15
	v_cmp_lt_i64_e64 s[6:7], s[36:37], v[17:18]
	v_addc_co_u32_e32 v16, vcc, 0, v16, vcc
	s_and_b64 vcc, exec, s[6:7]
	s_cbranch_vccz .LBB5_52
.LBB5_12:                               ; =>This Loop Header: Depth=1
                                        ;     Child Loop BB5_15 Depth 2
                                        ;       Child Loop BB5_19 Depth 3
	v_mov_b32_e32 v18, s37
	v_add_co_u32_e32 v17, vcc, s36, v0
	v_addc_co_u32_e32 v18, vcc, 0, v18, vcc
	v_mov_b32_e32 v31, 0
	v_cmp_gt_i64_e64 s[6:7], s[28:29], v[17:18]
	v_mov_b32_e32 v32, 0
	s_and_b64 vcc, exec, s[4:5]
	s_cbranch_vccnz .LBB5_41
; %bb.13:                               ;   in Loop: Header=BB5_12 Depth=1
	v_mov_b32_e32 v31, 0
	v_mov_b32_e32 v20, v16
	v_mov_b32_e32 v22, v14
	v_mov_b32_e32 v32, 0
	v_mov_b32_e32 v19, v15
	v_mov_b32_e32 v21, v13
	s_mov_b64 s[14:15], s[18:19]
	s_branch .LBB5_15
.LBB5_14:                               ;   in Loop: Header=BB5_15 Depth=2
	s_add_u32 s14, s14, 1
	v_mov_b32_e32 v25, s43
	v_add_co_u32_e32 v21, vcc, s42, v21
	v_mov_b32_e32 v23, s24
	s_addc_u32 s15, s15, 0
	v_addc_co_u32_e32 v22, vcc, v22, v25, vcc
	v_mov_b32_e32 v24, s25
	v_cmp_ge_i64_e32 vcc, s[14:15], v[23:24]
	v_add_co_u32_e64 v19, s[8:9], s42, v19
	v_addc_co_u32_e64 v20, s[8:9], v20, v25, s[8:9]
	s_cbranch_vccnz .LBB5_41
.LBB5_15:                               ;   Parent Loop BB5_12 Depth=1
                                        ; =>  This Loop Header: Depth=2
                                        ;       Child Loop BB5_19 Depth 3
	s_lshl_b64 s[8:9], s[14:15], 3
	s_add_u32 s8, s12, s8
	s_addc_u32 s9, s13, s9
	s_load_dwordx2 s[8:9], s[8:9], 0x0
	v_mov_b32_e32 v25, s28
	v_mov_b32_e32 v30, v22
	;; [unrolled: 1-line block ×3, first 2 shown]
	s_waitcnt lgkmcnt(0)
	s_sub_u32 s44, s8, s49
	s_subb_u32 s45, s9, 0
	v_mov_b32_e32 v23, s44
	v_mad_u64_u32 v[25:26], s[8:9], s44, v25, v[0:1]
	v_mad_u64_u32 v[23:24], s[8:9], s20, v23, v[9:10]
	s_mul_i32 s8, s45, s28
	s_mul_i32 s9, s44, s29
	s_add_i32 s9, s9, s8
	v_add_u32_e32 v26, s9, v26
	v_mul_lo_u32 v27, s38, v26
	v_mul_lo_u32 v28, s39, v25
	v_mad_u64_u32 v[25:26], s[8:9], s38, v25, v[11:12]
	s_mul_i32 s46, s21, s44
	s_mul_i32 s8, s20, s45
	s_add_i32 s8, s8, s46
	v_add3_u32 v26, v28, v26, v27
	v_mov_b32_e32 v28, v20
	v_add_u32_e32 v24, s8, v24
	s_mov_b64 s[44:45], 0
	v_mov_b32_e32 v27, v19
	s_branch .LBB5_19
.LBB5_16:                               ;   in Loop: Header=BB5_19 Depth=3
	s_or_b64 exec, exec, s[46:47]
.LBB5_17:                               ;   in Loop: Header=BB5_19 Depth=3
	s_or_b64 exec, exec, s[8:9]
.LBB5_18:                               ;   in Loop: Header=BB5_19 Depth=3
	v_add_u32_e32 v40, v7, v37
	s_waitcnt vmcnt(0)
	ds_write_b64 v40, v[33:34]
	s_waitcnt lgkmcnt(0)
	s_barrier
	ds_read2_b64 v[40:43], v7 offset1:32
	ds_read_b128 v[44:47], v37 offset:8192
	v_add_u32_e32 v48, 0x1800, v7
	v_add_co_u32_e32 v23, vcc, s50, v23
	s_mov_b64 s[8:9], vcc
	s_waitcnt lgkmcnt(0)
	v_fma_f64 v[31:32], v[40:41], v[44:45], v[31:32]
	v_mov_b32_e32 v49, s23
	v_add_co_u32_e32 v25, vcc, s22, v25
	v_addc_co_u32_e32 v26, vcc, v26, v49, vcc
	s_add_u32 s44, s44, 32
	v_add_co_u32_e32 v29, vcc, 0x100, v29
	v_fma_f64 v[44:45], v[42:43], v[46:47], v[31:32]
	ds_read_b128 v[31:34], v37 offset:8208
	ds_read2_b64 v[40:43], v7 offset0:64 offset1:96
	v_add_u32_e32 v46, 0x800, v7
	s_addc_u32 s45, s45, 0
	v_addc_co_u32_e32 v30, vcc, 0, v30, vcc
	v_addc_co_u32_e64 v24, s[8:9], 0, v24, s[8:9]
	s_waitcnt lgkmcnt(0)
	v_fma_f64 v[31:32], v[40:41], v[31:32], v[44:45]
	v_mov_b32_e32 v50, s41
	v_add_co_u32_e64 v27, s[8:9], s40, v27
	v_addc_co_u32_e64 v28, s[8:9], v28, v50, s[8:9]
	v_fma_f64 v[44:45], v[42:43], v[33:34], v[31:32]
	ds_read2_b64 v[31:34], v7 offset0:128 offset1:160
	ds_read_b128 v[40:43], v37 offset:8224
	s_waitcnt lgkmcnt(0)
	v_fma_f64 v[31:32], v[31:32], v[40:41], v[44:45]
	v_fma_f64 v[44:45], v[33:34], v[42:43], v[31:32]
	ds_read_b128 v[31:34], v37 offset:8240
	ds_read2_b64 v[40:43], v7 offset0:192 offset1:224
	s_waitcnt lgkmcnt(0)
	v_fma_f64 v[31:32], v[40:41], v[31:32], v[44:45]
	v_fma_f64 v[44:45], v[42:43], v[33:34], v[31:32]
	ds_read2_b64 v[31:34], v46 offset1:32
	ds_read_b128 v[40:43], v37 offset:8256
	s_waitcnt lgkmcnt(0)
	v_fma_f64 v[31:32], v[31:32], v[40:41], v[44:45]
	v_fma_f64 v[44:45], v[33:34], v[42:43], v[31:32]
	ds_read_b128 v[31:34], v37 offset:8272
	ds_read2_b64 v[40:43], v46 offset0:64 offset1:96
	s_waitcnt lgkmcnt(0)
	v_fma_f64 v[31:32], v[40:41], v[31:32], v[44:45]
	v_fma_f64 v[44:45], v[42:43], v[33:34], v[31:32]
	ds_read2_b64 v[31:34], v46 offset0:128 offset1:160
	ds_read_b128 v[40:43], v37 offset:8288
	s_waitcnt lgkmcnt(0)
	v_fma_f64 v[31:32], v[31:32], v[40:41], v[44:45]
	v_fma_f64 v[44:45], v[33:34], v[42:43], v[31:32]
	ds_read_b128 v[31:34], v37 offset:8304
	ds_read2_b64 v[40:43], v46 offset0:192 offset1:224
	v_add_u32_e32 v46, 0x1000, v7
	s_waitcnt lgkmcnt(0)
	v_fma_f64 v[31:32], v[40:41], v[31:32], v[44:45]
	v_fma_f64 v[44:45], v[42:43], v[33:34], v[31:32]
	ds_read2_b64 v[31:34], v46 offset1:32
	ds_read_b128 v[40:43], v37 offset:8320
	s_waitcnt lgkmcnt(0)
	v_fma_f64 v[31:32], v[31:32], v[40:41], v[44:45]
	v_fma_f64 v[44:45], v[33:34], v[42:43], v[31:32]
	ds_read_b128 v[31:34], v37 offset:8336
	ds_read2_b64 v[40:43], v46 offset0:64 offset1:96
	s_waitcnt lgkmcnt(0)
	v_fma_f64 v[31:32], v[40:41], v[31:32], v[44:45]
	v_fma_f64 v[44:45], v[42:43], v[33:34], v[31:32]
	ds_read2_b64 v[31:34], v46 offset0:128 offset1:160
	ds_read_b128 v[40:43], v37 offset:8352
	s_waitcnt lgkmcnt(0)
	v_fma_f64 v[31:32], v[31:32], v[40:41], v[44:45]
	v_fma_f64 v[44:45], v[33:34], v[42:43], v[31:32]
	ds_read_b128 v[31:34], v37 offset:8368
	ds_read2_b64 v[40:43], v46 offset0:192 offset1:224
	s_waitcnt lgkmcnt(0)
	v_fma_f64 v[31:32], v[40:41], v[31:32], v[44:45]
	v_fma_f64 v[44:45], v[42:43], v[33:34], v[31:32]
	ds_read2_b64 v[31:34], v48 offset1:32
	ds_read_b128 v[40:43], v37 offset:8384
	s_waitcnt lgkmcnt(0)
	v_fma_f64 v[31:32], v[31:32], v[40:41], v[44:45]
	v_fma_f64 v[44:45], v[33:34], v[42:43], v[31:32]
	ds_read_b128 v[31:34], v37 offset:8400
	ds_read2_b64 v[40:43], v48 offset0:64 offset1:96
	s_waitcnt lgkmcnt(0)
	v_fma_f64 v[31:32], v[40:41], v[31:32], v[44:45]
	v_fma_f64 v[44:45], v[42:43], v[33:34], v[31:32]
	ds_read2_b64 v[31:34], v48 offset0:128 offset1:160
	ds_read_b128 v[40:43], v37 offset:8416
	s_waitcnt lgkmcnt(0)
	v_fma_f64 v[31:32], v[31:32], v[40:41], v[44:45]
	ds_read_b128 v[44:47], v37 offset:8432
	v_mov_b32_e32 v41, s29
	v_mov_b32_e32 v40, s28
	v_cmp_ge_i64_e32 vcc, s[44:45], v[40:41]
	s_and_b64 vcc, exec, vcc
	v_fma_f64 v[42:43], v[33:34], v[42:43], v[31:32]
	ds_read2_b64 v[31:34], v48 offset0:192 offset1:224
	s_waitcnt lgkmcnt(0)
	s_barrier
	v_fma_f64 v[31:32], v[31:32], v[44:45], v[42:43]
	v_fma_f64 v[31:32], v[33:34], v[46:47], v[31:32]
	s_cbranch_vccnz .LBB5_14
.LBB5_19:                               ;   Parent Loop BB5_12 Depth=1
                                        ;     Parent Loop BB5_15 Depth=2
                                        ; =>    This Inner Loop Header: Depth=3
	s_mov_b64 s[8:9], -1
	s_and_b64 vcc, exec, s[30:31]
                                        ; implicit-def: $vgpr33_vgpr34
	s_cbranch_vccnz .LBB5_27
; %bb.20:                               ;   in Loop: Header=BB5_19 Depth=3
	s_andn2_b64 vcc, exec, s[8:9]
	s_cbranch_vccz .LBB5_32
.LBB5_21:                               ;   in Loop: Header=BB5_19 Depth=3
	s_and_b64 vcc, exec, s[26:27]
	s_waitcnt vmcnt(0)
	ds_write_b64 v8, v[33:34]
	s_cbranch_vccz .LBB5_37
.LBB5_22:                               ;   in Loop: Header=BB5_19 Depth=3
	v_mov_b32_e32 v33, 0
	v_mov_b32_e32 v34, 0
	s_and_saveexec_b64 s[8:9], s[6:7]
	s_cbranch_execz .LBB5_26
; %bb.23:                               ;   in Loop: Header=BB5_19 Depth=3
	v_mov_b32_e32 v34, s45
	v_add_co_u32_e32 v33, vcc, s44, v2
	v_addc_co_u32_e32 v34, vcc, 0, v34, vcc
	v_cmp_gt_i64_e32 vcc, s[28:29], v[33:34]
	v_mov_b32_e32 v33, 0
	v_mov_b32_e32 v34, 0
	s_and_saveexec_b64 s[46:47], vcc
	s_cbranch_execz .LBB5_25
; %bb.24:                               ;   in Loop: Header=BB5_19 Depth=3
	global_load_dwordx2 v[33:34], v[27:28], off
.LBB5_25:                               ;   in Loop: Header=BB5_19 Depth=3
	s_or_b64 exec, exec, s[46:47]
.LBB5_26:                               ;   in Loop: Header=BB5_19 Depth=3
	s_or_b64 exec, exec, s[8:9]
	s_cbranch_execnz .LBB5_18
	s_branch .LBB5_38
.LBB5_27:                               ;   in Loop: Header=BB5_19 Depth=3
	v_mov_b32_e32 v33, 0
	v_mov_b32_e32 v34, 0
	s_and_saveexec_b64 s[8:9], s[0:1]
	s_cbranch_execz .LBB5_31
; %bb.28:                               ;   in Loop: Header=BB5_19 Depth=3
	v_mov_b32_e32 v34, s45
	v_add_co_u32_e32 v33, vcc, s44, v0
	v_addc_co_u32_e32 v34, vcc, 0, v34, vcc
	v_cmp_gt_i64_e32 vcc, s[28:29], v[33:34]
	v_mov_b32_e32 v33, 0
	v_mov_b32_e32 v34, 0
	s_and_saveexec_b64 s[46:47], vcc
	s_cbranch_execz .LBB5_30
; %bb.29:                               ;   in Loop: Header=BB5_19 Depth=3
	global_load_dwordx2 v[33:34], v[25:26], off
.LBB5_30:                               ;   in Loop: Header=BB5_19 Depth=3
	s_or_b64 exec, exec, s[46:47]
.LBB5_31:                               ;   in Loop: Header=BB5_19 Depth=3
	s_or_b64 exec, exec, s[8:9]
	s_cbranch_execnz .LBB5_21
.LBB5_32:                               ;   in Loop: Header=BB5_19 Depth=3
	s_waitcnt vmcnt(0)
	v_mov_b32_e32 v33, 0
	v_mov_b32_e32 v34, 0
	s_and_saveexec_b64 s[8:9], s[0:1]
	s_cbranch_execz .LBB5_36
; %bb.33:                               ;   in Loop: Header=BB5_19 Depth=3
	v_mov_b32_e32 v34, s45
	v_add_co_u32_e32 v33, vcc, s44, v0
	v_addc_co_u32_e32 v34, vcc, 0, v34, vcc
	v_cmp_gt_i64_e32 vcc, s[28:29], v[33:34]
	v_mov_b32_e32 v33, 0
	v_mov_b32_e32 v34, 0
	s_and_saveexec_b64 s[46:47], vcc
	s_cbranch_execz .LBB5_35
; %bb.34:                               ;   in Loop: Header=BB5_19 Depth=3
	global_load_dwordx2 v[33:34], v[23:24], off
.LBB5_35:                               ;   in Loop: Header=BB5_19 Depth=3
	s_or_b64 exec, exec, s[46:47]
.LBB5_36:                               ;   in Loop: Header=BB5_19 Depth=3
	s_or_b64 exec, exec, s[8:9]
	s_and_b64 vcc, exec, s[26:27]
	s_waitcnt vmcnt(0)
	ds_write_b64 v8, v[33:34]
	s_cbranch_vccnz .LBB5_22
.LBB5_37:                               ;   in Loop: Header=BB5_19 Depth=3
                                        ; implicit-def: $vgpr33_vgpr34
.LBB5_38:                               ;   in Loop: Header=BB5_19 Depth=3
	s_waitcnt vmcnt(0)
	v_mov_b32_e32 v33, 0
	v_mov_b32_e32 v34, 0
	s_and_saveexec_b64 s[8:9], s[6:7]
	s_cbranch_execz .LBB5_17
; %bb.39:                               ;   in Loop: Header=BB5_19 Depth=3
	v_mov_b32_e32 v34, s45
	v_add_co_u32_e32 v33, vcc, s44, v2
	v_addc_co_u32_e32 v34, vcc, 0, v34, vcc
	v_cmp_gt_i64_e32 vcc, s[28:29], v[33:34]
	v_mov_b32_e32 v33, 0
	v_mov_b32_e32 v34, 0
	s_and_saveexec_b64 s[46:47], vcc
	s_cbranch_execz .LBB5_16
; %bb.40:                               ;   in Loop: Header=BB5_19 Depth=3
	global_load_dwordx2 v[33:34], v[29:30], off
	s_branch .LBB5_16
.LBB5_41:                               ;   in Loop: Header=BB5_12 Depth=1
	v_cmp_gt_i64_e32 vcc, s[28:29], v[17:18]
	s_and_b64 s[8:9], s[34:35], vcc
	s_and_saveexec_b64 s[6:7], s[8:9]
	s_cbranch_execz .LBB5_11
; %bb.42:                               ;   in Loop: Header=BB5_12 Depth=1
	v_mov_b32_e32 v19, s33
	v_add_co_u32_e32 v17, vcc, s48, v17
	v_addc_co_u32_e32 v18, vcc, v18, v19, vcc
	s_and_saveexec_b64 s[8:9], s[2:3]
	s_xor_b64 s[8:9], exec, s[8:9]
	s_cbranch_execz .LBB5_47
; %bb.43:                               ;   in Loop: Header=BB5_12 Depth=1
	s_mov_b64 s[14:15], -1
	s_and_b64 vcc, exec, s[16:17]
	s_cbranch_vccz .LBB5_45
; %bb.44:                               ;   in Loop: Header=BB5_12 Depth=1
	v_mul_lo_u32 v21, v18, s10
	v_mul_lo_u32 v22, v17, s11
	v_mad_u64_u32 v[19:20], s[14:15], v17, s10, 0
	v_mul_f64 v[23:24], v[3:4], v[31:32]
	s_mov_b64 s[14:15], 0
	v_add3_u32 v20, v20, v22, v21
	v_lshlrev_b64 v[19:20], 3, v[19:20]
	v_add_co_u32_e32 v19, vcc, v35, v19
	v_addc_co_u32_e32 v20, vcc, v36, v20, vcc
	global_load_dwordx2 v[21:22], v[19:20], off
	s_waitcnt vmcnt(0)
	v_fma_f64 v[21:22], v[5:6], v[21:22], v[23:24]
	global_store_dwordx2 v[19:20], v[21:22], off
.LBB5_45:                               ;   in Loop: Header=BB5_12 Depth=1
	s_andn2_b64 vcc, exec, s[14:15]
	s_cbranch_vccnz .LBB5_47
; %bb.46:                               ;   in Loop: Header=BB5_12 Depth=1
	v_lshlrev_b64 v[17:18], 3, v[17:18]
	v_mul_f64 v[21:22], v[3:4], v[31:32]
	v_add_co_u32_e32 v17, vcc, v38, v17
	v_addc_co_u32_e32 v18, vcc, v39, v18, vcc
	global_load_dwordx2 v[19:20], v[17:18], off
                                        ; implicit-def: $vgpr31_vgpr32
	s_waitcnt vmcnt(0)
	v_fma_f64 v[19:20], v[5:6], v[19:20], v[21:22]
	global_store_dwordx2 v[17:18], v[19:20], off
                                        ; implicit-def: $vgpr17_vgpr18
.LBB5_47:                               ;   in Loop: Header=BB5_12 Depth=1
	s_andn2_saveexec_b64 s[8:9], s[8:9]
	s_cbranch_execz .LBB5_11
; %bb.48:                               ;   in Loop: Header=BB5_12 Depth=1
	v_mul_f64 v[19:20], v[3:4], v[31:32]
	s_mov_b64 s[8:9], -1
	s_and_b64 vcc, exec, s[16:17]
	s_cbranch_vccz .LBB5_50
; %bb.49:                               ;   in Loop: Header=BB5_12 Depth=1
	v_mul_lo_u32 v23, v18, s10
	v_mul_lo_u32 v24, v17, s11
	v_mad_u64_u32 v[21:22], s[8:9], v17, s10, 0
	s_mov_b64 s[8:9], 0
	v_add3_u32 v22, v22, v24, v23
	v_lshlrev_b64 v[21:22], 3, v[21:22]
	v_add_co_u32_e32 v21, vcc, v35, v21
	v_addc_co_u32_e32 v22, vcc, v36, v22, vcc
	global_store_dwordx2 v[21:22], v[19:20], off
.LBB5_50:                               ;   in Loop: Header=BB5_12 Depth=1
	s_andn2_b64 vcc, exec, s[8:9]
	s_cbranch_vccnz .LBB5_11
; %bb.51:                               ;   in Loop: Header=BB5_12 Depth=1
	v_lshlrev_b64 v[17:18], 3, v[17:18]
	v_add_co_u32_e32 v17, vcc, v38, v17
	v_addc_co_u32_e32 v18, vcc, v39, v18, vcc
	global_store_dwordx2 v[17:18], v[19:20], off
	s_branch .LBB5_11
.LBB5_52:
	s_endpgm
	.section	.rodata,"a",@progbits
	.p2align	6, 0x0
	.amdhsa_kernel _ZN9rocsparseL29bsrmm_general_blockdim_kernelILj32ELj32EllddddEEvb20rocsparse_direction_T2_S2_llNS_24const_host_device_scalarIT6_EEPKT1_PKS2_PKT3_S2_PKT4_llS5_PT5_ll16rocsparse_order_21rocsparse_index_base_b
		.amdhsa_group_segment_fixed_size 16384
		.amdhsa_private_segment_fixed_size 0
		.amdhsa_kernarg_size 148
		.amdhsa_user_sgpr_count 6
		.amdhsa_user_sgpr_private_segment_buffer 1
		.amdhsa_user_sgpr_dispatch_ptr 0
		.amdhsa_user_sgpr_queue_ptr 0
		.amdhsa_user_sgpr_kernarg_segment_ptr 1
		.amdhsa_user_sgpr_dispatch_id 0
		.amdhsa_user_sgpr_flat_scratch_init 0
		.amdhsa_user_sgpr_private_segment_size 0
		.amdhsa_uses_dynamic_stack 0
		.amdhsa_system_sgpr_private_segment_wavefront_offset 0
		.amdhsa_system_sgpr_workgroup_id_x 1
		.amdhsa_system_sgpr_workgroup_id_y 1
		.amdhsa_system_sgpr_workgroup_id_z 0
		.amdhsa_system_sgpr_workgroup_info 0
		.amdhsa_system_vgpr_workitem_id 1
		.amdhsa_next_free_vgpr 51
		.amdhsa_next_free_sgpr 61
		.amdhsa_reserve_vcc 1
		.amdhsa_reserve_flat_scratch 0
		.amdhsa_float_round_mode_32 0
		.amdhsa_float_round_mode_16_64 0
		.amdhsa_float_denorm_mode_32 3
		.amdhsa_float_denorm_mode_16_64 3
		.amdhsa_dx10_clamp 1
		.amdhsa_ieee_mode 1
		.amdhsa_fp16_overflow 0
		.amdhsa_exception_fp_ieee_invalid_op 0
		.amdhsa_exception_fp_denorm_src 0
		.amdhsa_exception_fp_ieee_div_zero 0
		.amdhsa_exception_fp_ieee_overflow 0
		.amdhsa_exception_fp_ieee_underflow 0
		.amdhsa_exception_fp_ieee_inexact 0
		.amdhsa_exception_int_div_zero 0
	.end_amdhsa_kernel
	.section	.text._ZN9rocsparseL29bsrmm_general_blockdim_kernelILj32ELj32EllddddEEvb20rocsparse_direction_T2_S2_llNS_24const_host_device_scalarIT6_EEPKT1_PKS2_PKT3_S2_PKT4_llS5_PT5_ll16rocsparse_order_21rocsparse_index_base_b,"axG",@progbits,_ZN9rocsparseL29bsrmm_general_blockdim_kernelILj32ELj32EllddddEEvb20rocsparse_direction_T2_S2_llNS_24const_host_device_scalarIT6_EEPKT1_PKS2_PKT3_S2_PKT4_llS5_PT5_ll16rocsparse_order_21rocsparse_index_base_b,comdat
.Lfunc_end5:
	.size	_ZN9rocsparseL29bsrmm_general_blockdim_kernelILj32ELj32EllddddEEvb20rocsparse_direction_T2_S2_llNS_24const_host_device_scalarIT6_EEPKT1_PKS2_PKT3_S2_PKT4_llS5_PT5_ll16rocsparse_order_21rocsparse_index_base_b, .Lfunc_end5-_ZN9rocsparseL29bsrmm_general_blockdim_kernelILj32ELj32EllddddEEvb20rocsparse_direction_T2_S2_llNS_24const_host_device_scalarIT6_EEPKT1_PKS2_PKT3_S2_PKT4_llS5_PT5_ll16rocsparse_order_21rocsparse_index_base_b
                                        ; -- End function
	.set _ZN9rocsparseL29bsrmm_general_blockdim_kernelILj32ELj32EllddddEEvb20rocsparse_direction_T2_S2_llNS_24const_host_device_scalarIT6_EEPKT1_PKS2_PKT3_S2_PKT4_llS5_PT5_ll16rocsparse_order_21rocsparse_index_base_b.num_vgpr, 51
	.set _ZN9rocsparseL29bsrmm_general_blockdim_kernelILj32ELj32EllddddEEvb20rocsparse_direction_T2_S2_llNS_24const_host_device_scalarIT6_EEPKT1_PKS2_PKT3_S2_PKT4_llS5_PT5_ll16rocsparse_order_21rocsparse_index_base_b.num_agpr, 0
	.set _ZN9rocsparseL29bsrmm_general_blockdim_kernelILj32ELj32EllddddEEvb20rocsparse_direction_T2_S2_llNS_24const_host_device_scalarIT6_EEPKT1_PKS2_PKT3_S2_PKT4_llS5_PT5_ll16rocsparse_order_21rocsparse_index_base_b.numbered_sgpr, 51
	.set _ZN9rocsparseL29bsrmm_general_blockdim_kernelILj32ELj32EllddddEEvb20rocsparse_direction_T2_S2_llNS_24const_host_device_scalarIT6_EEPKT1_PKS2_PKT3_S2_PKT4_llS5_PT5_ll16rocsparse_order_21rocsparse_index_base_b.num_named_barrier, 0
	.set _ZN9rocsparseL29bsrmm_general_blockdim_kernelILj32ELj32EllddddEEvb20rocsparse_direction_T2_S2_llNS_24const_host_device_scalarIT6_EEPKT1_PKS2_PKT3_S2_PKT4_llS5_PT5_ll16rocsparse_order_21rocsparse_index_base_b.private_seg_size, 0
	.set _ZN9rocsparseL29bsrmm_general_blockdim_kernelILj32ELj32EllddddEEvb20rocsparse_direction_T2_S2_llNS_24const_host_device_scalarIT6_EEPKT1_PKS2_PKT3_S2_PKT4_llS5_PT5_ll16rocsparse_order_21rocsparse_index_base_b.uses_vcc, 1
	.set _ZN9rocsparseL29bsrmm_general_blockdim_kernelILj32ELj32EllddddEEvb20rocsparse_direction_T2_S2_llNS_24const_host_device_scalarIT6_EEPKT1_PKS2_PKT3_S2_PKT4_llS5_PT5_ll16rocsparse_order_21rocsparse_index_base_b.uses_flat_scratch, 0
	.set _ZN9rocsparseL29bsrmm_general_blockdim_kernelILj32ELj32EllddddEEvb20rocsparse_direction_T2_S2_llNS_24const_host_device_scalarIT6_EEPKT1_PKS2_PKT3_S2_PKT4_llS5_PT5_ll16rocsparse_order_21rocsparse_index_base_b.has_dyn_sized_stack, 0
	.set _ZN9rocsparseL29bsrmm_general_blockdim_kernelILj32ELj32EllddddEEvb20rocsparse_direction_T2_S2_llNS_24const_host_device_scalarIT6_EEPKT1_PKS2_PKT3_S2_PKT4_llS5_PT5_ll16rocsparse_order_21rocsparse_index_base_b.has_recursion, 0
	.set _ZN9rocsparseL29bsrmm_general_blockdim_kernelILj32ELj32EllddddEEvb20rocsparse_direction_T2_S2_llNS_24const_host_device_scalarIT6_EEPKT1_PKS2_PKT3_S2_PKT4_llS5_PT5_ll16rocsparse_order_21rocsparse_index_base_b.has_indirect_call, 0
	.section	.AMDGPU.csdata,"",@progbits
; Kernel info:
; codeLenInByte = 2524
; TotalNumSgprs: 55
; NumVgprs: 51
; ScratchSize: 0
; MemoryBound: 0
; FloatMode: 240
; IeeeMode: 1
; LDSByteSize: 16384 bytes/workgroup (compile time only)
; SGPRBlocks: 8
; VGPRBlocks: 12
; NumSGPRsForWavesPerEU: 65
; NumVGPRsForWavesPerEU: 51
; Occupancy: 4
; WaveLimiterHint : 1
; COMPUTE_PGM_RSRC2:SCRATCH_EN: 0
; COMPUTE_PGM_RSRC2:USER_SGPR: 6
; COMPUTE_PGM_RSRC2:TRAP_HANDLER: 0
; COMPUTE_PGM_RSRC2:TGID_X_EN: 1
; COMPUTE_PGM_RSRC2:TGID_Y_EN: 1
; COMPUTE_PGM_RSRC2:TGID_Z_EN: 0
; COMPUTE_PGM_RSRC2:TIDIG_COMP_CNT: 1
	.section	.text._ZN9rocsparseL29bsrmm_general_blockdim_kernelILj32ELj32Eii21rocsparse_complex_numIfES2_S2_S2_EEvb20rocsparse_direction_T2_S4_llNS_24const_host_device_scalarIT6_EEPKT1_PKS4_PKT3_S4_PKT4_llS7_PT5_ll16rocsparse_order_21rocsparse_index_base_b,"axG",@progbits,_ZN9rocsparseL29bsrmm_general_blockdim_kernelILj32ELj32Eii21rocsparse_complex_numIfES2_S2_S2_EEvb20rocsparse_direction_T2_S4_llNS_24const_host_device_scalarIT6_EEPKT1_PKS4_PKT3_S4_PKT4_llS7_PT5_ll16rocsparse_order_21rocsparse_index_base_b,comdat
	.globl	_ZN9rocsparseL29bsrmm_general_blockdim_kernelILj32ELj32Eii21rocsparse_complex_numIfES2_S2_S2_EEvb20rocsparse_direction_T2_S4_llNS_24const_host_device_scalarIT6_EEPKT1_PKS4_PKT3_S4_PKT4_llS7_PT5_ll16rocsparse_order_21rocsparse_index_base_b ; -- Begin function _ZN9rocsparseL29bsrmm_general_blockdim_kernelILj32ELj32Eii21rocsparse_complex_numIfES2_S2_S2_EEvb20rocsparse_direction_T2_S4_llNS_24const_host_device_scalarIT6_EEPKT1_PKS4_PKT3_S4_PKT4_llS7_PT5_ll16rocsparse_order_21rocsparse_index_base_b
	.p2align	8
	.type	_ZN9rocsparseL29bsrmm_general_blockdim_kernelILj32ELj32Eii21rocsparse_complex_numIfES2_S2_S2_EEvb20rocsparse_direction_T2_S4_llNS_24const_host_device_scalarIT6_EEPKT1_PKS4_PKT3_S4_PKT4_llS7_PT5_ll16rocsparse_order_21rocsparse_index_base_b,@function
_ZN9rocsparseL29bsrmm_general_blockdim_kernelILj32ELj32Eii21rocsparse_complex_numIfES2_S2_S2_EEvb20rocsparse_direction_T2_S4_llNS_24const_host_device_scalarIT6_EEPKT1_PKS4_PKT3_S4_PKT4_llS7_PT5_ll16rocsparse_order_21rocsparse_index_base_b: ; @_ZN9rocsparseL29bsrmm_general_blockdim_kernelILj32ELj32Eii21rocsparse_complex_numIfES2_S2_S2_EEvb20rocsparse_direction_T2_S4_llNS_24const_host_device_scalarIT6_EEPKT1_PKS4_PKT3_S4_PKT4_llS7_PT5_ll16rocsparse_order_21rocsparse_index_base_b
; %bb.0:
	s_load_dwordx2 s[2:3], s[4:5], 0x20
	s_load_dwordx4 s[8:11], s[4:5], 0x80
	s_add_u32 s1, s4, 32
	s_mov_b32 s0, s7
	s_addc_u32 s7, s5, 0
	s_add_u32 s12, s4, 0x60
	s_addc_u32 s13, s5, 0
	s_waitcnt lgkmcnt(0)
	s_bitcmp1_b32 s10, 0
	s_load_dwordx2 s[10:11], s[4:5], 0x60
	s_cselect_b32 s3, s7, s3
	s_cselect_b32 s1, s1, s2
	v_mov_b32_e32 v2, s1
	v_mov_b32_e32 v3, s3
	flat_load_dwordx2 v[2:3], v[2:3]
	s_waitcnt lgkmcnt(0)
	s_cselect_b32 s1, s13, s11
	s_cselect_b32 s2, s12, s10
	v_mov_b32_e32 v4, s2
	v_mov_b32_e32 v5, s1
	flat_load_dwordx2 v[4:5], v[4:5]
	s_waitcnt vmcnt(0)
	v_cmp_eq_f32_e32 vcc, 0, v2
	v_cmp_eq_f32_e64 s[2:3], 0, v3
	s_and_b64 s[12:13], vcc, s[2:3]
	s_mov_b64 s[2:3], -1
	s_and_saveexec_b64 s[10:11], s[12:13]
	s_cbranch_execz .LBB6_2
; %bb.1:
	s_waitcnt lgkmcnt(0)
	v_cmp_neq_f32_e32 vcc, 1.0, v4
	v_cmp_neq_f32_e64 s[2:3], 0, v5
	s_or_b64 s[2:3], vcc, s[2:3]
	s_orn2_b64 s[2:3], s[2:3], exec
.LBB6_2:
	s_or_b64 exec, exec, s[10:11]
	s_and_saveexec_b64 s[10:11], s[2:3]
	s_cbranch_execz .LBB6_54
; %bb.3:
	s_load_dwordx4 s[24:27], s[4:5], 0x0
	s_load_dwordx2 s[10:11], s[4:5], 0x28
	s_mov_b32 s33, 0
	s_mov_b32 s38, 0
	s_waitcnt lgkmcnt(0)
	s_cmp_lt_i32 s6, s26
	s_cselect_b64 s[2:3], -1, 0
	s_cmp_ge_i32 s6, s26
	s_cbranch_scc0 .LBB6_6
; %bb.4:
	s_andn2_b64 vcc, exec, s[2:3]
	s_cbranch_vccz .LBB6_7
.LBB6_5:
	s_load_dword s39, s[4:5], 0x40
	s_waitcnt lgkmcnt(0)
	s_cmp_lt_i32 s39, 1
	s_cbranch_scc0 .LBB6_8
	s_branch .LBB6_54
.LBB6_6:
	s_ashr_i32 s7, s6, 31
	s_lshl_b64 s[12:13], s[6:7], 2
	s_add_u32 s12, s10, s12
	s_addc_u32 s13, s11, s13
	s_load_dword s1, s[12:13], 0x0
	s_waitcnt lgkmcnt(0)
	s_sub_i32 s38, s1, s9
	s_andn2_b64 vcc, exec, s[2:3]
	s_cbranch_vccnz .LBB6_5
.LBB6_7:
	s_ashr_i32 s7, s6, 31
	s_lshl_b64 s[12:13], s[6:7], 2
	s_add_u32 s10, s10, s12
	s_addc_u32 s11, s11, s13
	s_load_dword s1, s[10:11], 0x4
	s_waitcnt lgkmcnt(0)
	s_sub_i32 s33, s1, s9
	s_load_dword s39, s[4:5], 0x40
	s_waitcnt lgkmcnt(0)
	s_cmp_lt_i32 s39, 1
	s_cbranch_scc1 .LBB6_54
.LBB6_8:
	s_load_dwordx4 s[12:15], s[4:5], 0x68
	s_load_dwordx4 s[16:19], s[4:5], 0x30
	;; [unrolled: 1-line block ×3, first 2 shown]
	v_lshl_add_u32 v6, s0, 5, v1
	v_ashrrev_i32_e32 v7, 31, v6
	s_mul_i32 s40, s39, s6
	v_lshlrev_b64 v[8:9], 3, v[6:7]
	s_waitcnt lgkmcnt(0)
	v_mul_lo_u32 v16, s22, v7
	v_mul_lo_u32 v17, s23, v6
	v_mad_u64_u32 v[10:11], s[6:7], s22, v6, 0
	s_bitcmp1_b32 s24, 0
	s_cselect_b64 s[4:5], -1, 0
	v_add3_u32 v11, v11, v16, v17
	v_mov_b32_e32 v14, s21
	v_add_co_u32_e32 v13, vcc, s20, v8
	v_lshlrev_b64 v[10:11], 3, v[10:11]
	s_xor_b64 s[10:11], s[4:5], -1
	v_addc_co_u32_e32 v14, vcc, v14, v9, vcc
	s_cmp_lt_i32 s38, s33
	v_mov_b32_e32 v17, s21
	v_add_co_u32_e32 v16, vcc, s20, v10
	s_cselect_b64 s[4:5], -1, 0
	v_cmp_gt_i32_e64 s[0:1], s27, v6
	v_addc_co_u32_e32 v17, vcc, v17, v11, vcc
	s_cmp_lg_u32 s25, 0
	s_cselect_b64 s[6:7], -1, 0
	s_and_b64 s[20:21], s[2:3], s[0:1]
	v_cmp_neq_f32_e32 vcc, 0, v4
	v_cmp_neq_f32_e64 s[2:3], 0, v5
	s_or_b64 s[24:25], vcc, s[2:3]
	v_mul_lo_u32 v11, s14, v7
	v_mul_lo_u32 v20, s15, v6
	v_mad_u64_u32 v[6:7], s[2:3], s14, v6, 0
	v_mov_b32_e32 v10, s13
	v_add_co_u32_e32 v18, vcc, s12, v8
	v_add3_u32 v7, v7, v11, v20
	v_lshlrev_b64 v[6:7], 3, v[6:7]
	v_addc_co_u32_e32 v19, vcc, v10, v9, vcc
	s_mul_i32 s2, s38, s39
	v_mov_b32_e32 v8, s13
	v_add_co_u32_e32 v20, vcc, s12, v6
	v_add_u32_e32 v6, s2, v0
	v_addc_co_u32_e32 v21, vcc, v8, v7, vcc
	v_mad_u64_u32 v[6:7], s[2:3], s39, v6, v[1:2]
	v_lshlrev_b32_e32 v12, 3, v0
	v_or_b32_e32 v22, 0x2000, v12
	v_lshlrev_b32_e32 v15, 8, v1
	s_cmp_lg_u32 s8, 1
	v_cndmask_b32_e64 v7, 0, 1, s[4:5]
	s_mov_b32 s41, 0
	s_cselect_b64 s[26:27], -1, 0
	s_lshl_b32 s8, s39, 5
	s_mul_i32 s42, s39, s39
	v_cmp_ne_u32_e64 s[2:3], 1, v7
	v_add_u32_e32 v22, v22, v15
	s_branch .LBB6_10
.LBB6_9:                                ;   in Loop: Header=BB6_10 Depth=1
	s_or_b64 exec, exec, s[4:5]
	s_add_i32 s41, s41, 32
	s_cmp_lt_i32 s41, s39
	v_add_u32_e32 v6, s8, v6
	s_cbranch_scc0 .LBB6_54
.LBB6_10:                               ; =>This Loop Header: Depth=1
                                        ;     Child Loop BB6_13 Depth 2
                                        ;       Child Loop BB6_15 Depth 3
	v_add_u32_e32 v7, s41, v0
	v_mov_b32_e32 v23, 0
	s_and_b64 vcc, exec, s[2:3]
	v_cmp_gt_i32_e64 s[4:5], s39, v7
	v_mov_b32_e32 v26, 0
	s_cbranch_vccnz .LBB6_43
; %bb.11:                               ;   in Loop: Header=BB6_10 Depth=1
	v_mov_b32_e32 v23, 0
	v_mov_b32_e32 v24, v6
	s_mov_b32 s12, s38
	v_mov_b32_e32 v26, 0
	s_branch .LBB6_13
.LBB6_12:                               ;   in Loop: Header=BB6_13 Depth=2
	s_add_i32 s12, s12, 1
	s_cmp_ge_i32 s12, s33
	v_add_u32_e32 v24, s42, v24
	s_cbranch_scc1 .LBB6_43
.LBB6_13:                               ;   Parent Loop BB6_10 Depth=1
                                        ; =>  This Loop Header: Depth=2
                                        ;       Child Loop BB6_15 Depth 3
	s_ashr_i32 s13, s12, 31
	s_lshl_b64 s[28:29], s[12:13], 2
	s_add_u32 s28, s16, s28
	s_addc_u32 s29, s17, s29
	s_load_dword s28, s[28:29], 0x0
	s_mul_i32 s13, s12, s39
	s_mov_b32 s43, 0
	s_waitcnt lgkmcnt(0)
	s_sub_i32 s28, s28, s9
	s_mul_i32 s28, s28, s39
	v_add_u32_e32 v25, s28, v0
	s_branch .LBB6_15
.LBB6_14:                               ;   in Loop: Header=BB6_15 Depth=3
	s_or_b64 exec, exec, s[30:31]
	v_add_u32_e32 v8, v12, v15
	s_waitcnt vmcnt(0)
	ds_write_b64 v8, v[9:10]
	s_waitcnt lgkmcnt(0)
	s_barrier
	ds_read2_b64 v[8:11], v12 offset1:32
	ds_read_b128 v[27:30], v15 offset:8192
	ds_read_b128 v[31:34], v15 offset:8208
	;; [unrolled: 1-line block ×4, first 2 shown]
	ds_read2_b64 v[43:46], v12 offset0:64 offset1:96
	s_waitcnt lgkmcnt(4)
	v_fmac_f32_e32 v26, v8, v27
	v_fma_f32 v26, -v9, v28, v26
	v_fmac_f32_e32 v23, v9, v27
	v_fmac_f32_e32 v26, v10, v29
	;; [unrolled: 1-line block ×3, first 2 shown]
	v_fma_f32 v8, -v11, v30, v26
	v_fmac_f32_e32 v23, v11, v29
	s_waitcnt lgkmcnt(0)
	v_fmac_f32_e32 v8, v43, v31
	v_fmac_f32_e32 v23, v10, v30
	v_fma_f32 v26, -v44, v32, v8
	ds_read2_b64 v[8:11], v12 offset0:128 offset1:160
	v_fmac_f32_e32 v26, v45, v33
	v_fmac_f32_e32 v23, v44, v31
	v_fma_f32 v26, -v46, v34, v26
	v_fmac_f32_e32 v23, v43, v32
	s_waitcnt lgkmcnt(0)
	v_fmac_f32_e32 v26, v8, v35
	v_fmac_f32_e32 v23, v46, v33
	v_fma_f32 v30, -v9, v36, v26
	ds_read2_b64 v[26:29], v12 offset0:192 offset1:224
	v_fmac_f32_e32 v23, v45, v34
	v_fmac_f32_e32 v23, v9, v35
	;; [unrolled: 1-line block ×4, first 2 shown]
	v_fma_f32 v8, -v11, v38, v30
	v_fmac_f32_e32 v23, v11, v37
	v_fmac_f32_e32 v23, v10, v38
	s_waitcnt lgkmcnt(0)
	v_fmac_f32_e32 v8, v26, v39
	v_add_u32_e32 v38, 0x800, v12
	v_fma_f32 v34, -v27, v40, v8
	ds_read2_b64 v[8:11], v38 offset1:32
	ds_read_b128 v[30:33], v15 offset:8256
	v_fmac_f32_e32 v23, v27, v39
	v_fmac_f32_e32 v34, v28, v41
	;; [unrolled: 1-line block ×3, first 2 shown]
	v_fma_f32 v34, -v29, v42, v34
	v_fmac_f32_e32 v23, v29, v41
	s_waitcnt lgkmcnt(0)
	v_fmac_f32_e32 v34, v8, v30
	v_fmac_f32_e32 v23, v28, v42
	ds_read_b128 v[26:29], v15 offset:8272
	v_fma_f32 v39, -v9, v31, v34
	ds_read2_b64 v[34:37], v38 offset0:64 offset1:96
	v_fmac_f32_e32 v23, v9, v30
	v_fmac_f32_e32 v39, v10, v32
	;; [unrolled: 1-line block ×3, first 2 shown]
	v_fma_f32 v8, -v11, v33, v39
	v_fmac_f32_e32 v23, v11, v32
	s_waitcnt lgkmcnt(0)
	v_fmac_f32_e32 v8, v34, v26
	v_fmac_f32_e32 v23, v10, v33
	v_fma_f32 v39, -v35, v27, v8
	ds_read2_b64 v[8:11], v38 offset0:128 offset1:160
	ds_read_b128 v[30:33], v15 offset:8288
	v_fmac_f32_e32 v23, v35, v26
	v_fmac_f32_e32 v39, v36, v28
	;; [unrolled: 1-line block ×3, first 2 shown]
	v_fma_f32 v34, -v37, v29, v39
	v_fmac_f32_e32 v23, v37, v28
	s_waitcnt lgkmcnt(0)
	v_fmac_f32_e32 v34, v8, v30
	v_fmac_f32_e32 v23, v36, v29
	ds_read_b128 v[26:29], v15 offset:8304
	v_fma_f32 v39, -v9, v31, v34
	ds_read2_b64 v[34:37], v38 offset0:192 offset1:224
	v_fmac_f32_e32 v23, v9, v30
	v_fmac_f32_e32 v39, v10, v32
	;; [unrolled: 1-line block ×3, first 2 shown]
	v_fma_f32 v8, -v11, v33, v39
	v_fmac_f32_e32 v23, v11, v32
	s_waitcnt lgkmcnt(0)
	v_fmac_f32_e32 v8, v34, v26
	v_add_u32_e32 v39, 0x1000, v12
	v_fmac_f32_e32 v23, v10, v33
	v_fma_f32 v38, -v35, v27, v8
	ds_read2_b64 v[8:11], v39 offset1:32
	ds_read_b128 v[30:33], v15 offset:8320
	v_fmac_f32_e32 v23, v35, v26
	v_fmac_f32_e32 v38, v36, v28
	v_fmac_f32_e32 v23, v34, v27
	v_fma_f32 v34, -v37, v29, v38
	v_fmac_f32_e32 v23, v37, v28
	s_waitcnt lgkmcnt(0)
	v_fmac_f32_e32 v34, v8, v30
	v_fmac_f32_e32 v23, v36, v29
	ds_read_b128 v[26:29], v15 offset:8336
	v_fma_f32 v38, -v9, v31, v34
	ds_read2_b64 v[34:37], v39 offset0:64 offset1:96
	v_fmac_f32_e32 v23, v9, v30
	v_fmac_f32_e32 v38, v10, v32
	;; [unrolled: 1-line block ×3, first 2 shown]
	v_fma_f32 v8, -v11, v33, v38
	v_fmac_f32_e32 v23, v11, v32
	s_waitcnt lgkmcnt(0)
	v_fmac_f32_e32 v8, v34, v26
	v_fmac_f32_e32 v23, v10, v33
	v_fma_f32 v38, -v35, v27, v8
	ds_read2_b64 v[8:11], v39 offset0:128 offset1:160
	ds_read_b128 v[30:33], v15 offset:8352
	v_fmac_f32_e32 v23, v35, v26
	v_fmac_f32_e32 v38, v36, v28
	;; [unrolled: 1-line block ×3, first 2 shown]
	v_fma_f32 v34, -v37, v29, v38
	v_fmac_f32_e32 v23, v37, v28
	s_waitcnt lgkmcnt(0)
	v_fmac_f32_e32 v34, v8, v30
	v_fmac_f32_e32 v23, v36, v29
	ds_read_b128 v[26:29], v15 offset:8368
	v_fma_f32 v38, -v9, v31, v34
	ds_read2_b64 v[34:37], v39 offset0:192 offset1:224
	v_fmac_f32_e32 v23, v9, v30
	v_fmac_f32_e32 v38, v10, v32
	;; [unrolled: 1-line block ×3, first 2 shown]
	v_fma_f32 v8, -v11, v33, v38
	v_fmac_f32_e32 v23, v11, v32
	s_waitcnt lgkmcnt(0)
	v_fmac_f32_e32 v8, v34, v26
	v_add_u32_e32 v39, 0x1800, v12
	v_fmac_f32_e32 v23, v10, v33
	v_fma_f32 v38, -v35, v27, v8
	ds_read2_b64 v[8:11], v39 offset1:32
	ds_read_b128 v[30:33], v15 offset:8384
	v_fmac_f32_e32 v23, v35, v26
	v_fmac_f32_e32 v38, v36, v28
	;; [unrolled: 1-line block ×3, first 2 shown]
	v_fma_f32 v34, -v37, v29, v38
	v_fmac_f32_e32 v23, v37, v28
	s_waitcnt lgkmcnt(0)
	v_fmac_f32_e32 v34, v8, v30
	v_fmac_f32_e32 v23, v36, v29
	ds_read_b128 v[26:29], v15 offset:8400
	v_fma_f32 v38, -v9, v31, v34
	ds_read2_b64 v[34:37], v39 offset0:64 offset1:96
	v_fmac_f32_e32 v23, v9, v30
	v_fmac_f32_e32 v38, v10, v32
	;; [unrolled: 1-line block ×3, first 2 shown]
	v_fma_f32 v8, -v11, v33, v38
	v_fmac_f32_e32 v23, v11, v32
	s_waitcnt lgkmcnt(0)
	v_fmac_f32_e32 v8, v34, v26
	v_fmac_f32_e32 v23, v10, v33
	v_fma_f32 v38, -v35, v27, v8
	ds_read2_b64 v[8:11], v39 offset0:128 offset1:160
	ds_read_b128 v[30:33], v15 offset:8416
	v_fmac_f32_e32 v23, v35, v26
	v_fmac_f32_e32 v38, v36, v28
	v_fmac_f32_e32 v23, v34, v27
	v_fma_f32 v34, -v37, v29, v38
	v_fmac_f32_e32 v23, v37, v28
	s_waitcnt lgkmcnt(0)
	v_fmac_f32_e32 v34, v8, v30
	v_fmac_f32_e32 v23, v36, v29
	ds_read_b128 v[26:29], v15 offset:8432
	v_fma_f32 v38, -v9, v31, v34
	ds_read2_b64 v[34:37], v39 offset0:192 offset1:224
	v_fmac_f32_e32 v23, v9, v30
	v_fmac_f32_e32 v23, v8, v31
	;; [unrolled: 1-line block ×4, first 2 shown]
	v_fma_f32 v8, -v11, v33, v38
	v_fmac_f32_e32 v23, v10, v33
	s_waitcnt lgkmcnt(0)
	v_fmac_f32_e32 v8, v34, v26
	v_fmac_f32_e32 v23, v35, v26
	v_fma_f32 v8, -v35, v27, v8
	v_fmac_f32_e32 v23, v34, v27
	v_fmac_f32_e32 v8, v36, v28
	;; [unrolled: 1-line block ×3, first 2 shown]
	s_add_i32 s43, s43, 32
	v_fma_f32 v26, -v37, v29, v8
	v_fmac_f32_e32 v23, v36, v29
	s_cmp_ge_i32 s43, s39
	s_barrier
	s_cbranch_scc1 .LBB6_12
.LBB6_15:                               ;   Parent Loop BB6_10 Depth=1
                                        ;     Parent Loop BB6_13 Depth=2
                                        ; =>    This Inner Loop Header: Depth=3
	s_and_b64 vcc, exec, s[10:11]
	s_cbranch_vccz .LBB6_21
; %bb.16:                               ;   in Loop: Header=BB6_15 Depth=3
	s_mov_b64 s[30:31], 0
	s_mov_b64 s[28:29], 0
                                        ; implicit-def: $vgpr8_vgpr9
	s_and_saveexec_b64 s[34:35], s[0:1]
	s_cbranch_execz .LBB6_20
; %bb.17:                               ;   in Loop: Header=BB6_15 Depth=3
	v_add_u32_e32 v8, s43, v0
	v_cmp_gt_i32_e32 vcc, s39, v8
                                        ; implicit-def: $vgpr8_vgpr9
	s_and_saveexec_b64 s[36:37], vcc
	s_xor_b64 s[36:37], exec, s[36:37]
	s_cbranch_execz .LBB6_19
; %bb.18:                               ;   in Loop: Header=BB6_15 Depth=3
	v_add_u32_e32 v8, s43, v25
	v_ashrrev_i32_e32 v9, 31, v8
	v_mul_lo_u32 v10, s22, v9
	v_mul_lo_u32 v11, s23, v8
	v_mad_u64_u32 v[8:9], s[44:45], s22, v8, 0
	s_mov_b64 s[28:29], exec
	v_add3_u32 v9, v9, v10, v11
	v_lshlrev_b64 v[8:9], 3, v[8:9]
	v_add_co_u32_e32 v8, vcc, v13, v8
	v_addc_co_u32_e32 v9, vcc, v14, v9, vcc
.LBB6_19:                               ;   in Loop: Header=BB6_15 Depth=3
	s_or_b64 exec, exec, s[36:37]
	s_and_b64 s[28:29], s[28:29], exec
.LBB6_20:                               ;   in Loop: Header=BB6_15 Depth=3
	s_or_b64 exec, exec, s[34:35]
	s_and_b64 vcc, exec, s[30:31]
	s_cbranch_vccnz .LBB6_22
	s_branch .LBB6_27
.LBB6_21:                               ;   in Loop: Header=BB6_15 Depth=3
	s_mov_b64 s[28:29], 0
                                        ; implicit-def: $vgpr8_vgpr9
	s_cbranch_execz .LBB6_27
.LBB6_22:                               ;   in Loop: Header=BB6_15 Depth=3
                                        ; implicit-def: $vgpr8_vgpr9
	s_and_saveexec_b64 s[30:31], s[0:1]
	s_cbranch_execz .LBB6_26
; %bb.23:                               ;   in Loop: Header=BB6_15 Depth=3
	v_add_u32_e32 v8, s43, v0
	v_cmp_gt_i32_e32 vcc, s39, v8
	s_mov_b64 s[36:37], s[28:29]
                                        ; implicit-def: $vgpr8_vgpr9
	s_and_saveexec_b64 s[34:35], vcc
; %bb.24:                               ;   in Loop: Header=BB6_15 Depth=3
	v_add_u32_e32 v8, s43, v25
	v_ashrrev_i32_e32 v9, 31, v8
	v_lshlrev_b64 v[8:9], 3, v[8:9]
	s_or_b64 s[36:37], s[28:29], exec
	v_add_co_u32_e32 v8, vcc, v16, v8
	v_addc_co_u32_e32 v9, vcc, v17, v9, vcc
; %bb.25:                               ;   in Loop: Header=BB6_15 Depth=3
	s_or_b64 exec, exec, s[34:35]
	s_andn2_b64 s[28:29], s[28:29], exec
	s_and_b64 s[34:35], s[36:37], exec
	s_or_b64 s[28:29], s[28:29], s[34:35]
.LBB6_26:                               ;   in Loop: Header=BB6_15 Depth=3
	s_or_b64 exec, exec, s[30:31]
.LBB6_27:                               ;   in Loop: Header=BB6_15 Depth=3
	v_mov_b32_e32 v10, 0
	v_mov_b32_e32 v11, 0
	s_and_saveexec_b64 s[30:31], s[28:29]
	s_cbranch_execnz .LBB6_35
; %bb.28:                               ;   in Loop: Header=BB6_15 Depth=3
	s_or_b64 exec, exec, s[30:31]
	s_and_b64 vcc, exec, s[6:7]
	ds_write_b64 v22, v[10:11]
	s_cbranch_vccz .LBB6_36
.LBB6_29:                               ;   in Loop: Header=BB6_15 Depth=3
	s_mov_b64 s[30:31], 0
	s_mov_b64 s[28:29], 0
                                        ; implicit-def: $vgpr8
	s_and_saveexec_b64 s[34:35], s[4:5]
	s_cbranch_execz .LBB6_33
; %bb.30:                               ;   in Loop: Header=BB6_15 Depth=3
	v_add_u32_e32 v9, s43, v1
	v_cmp_gt_i32_e32 vcc, s39, v9
                                        ; implicit-def: $vgpr8
	s_and_saveexec_b64 s[36:37], vcc
	s_xor_b64 s[36:37], exec, s[36:37]
; %bb.31:                               ;   in Loop: Header=BB6_15 Depth=3
	v_add_u32_e32 v8, s13, v9
	s_mov_b64 s[28:29], exec
	v_mad_u64_u32 v[8:9], s[44:45], v8, s39, v[7:8]
; %bb.32:                               ;   in Loop: Header=BB6_15 Depth=3
	s_or_b64 exec, exec, s[36:37]
	s_and_b64 s[28:29], s[28:29], exec
.LBB6_33:                               ;   in Loop: Header=BB6_15 Depth=3
	s_or_b64 exec, exec, s[34:35]
	s_and_b64 vcc, exec, s[30:31]
	s_cbranch_vccnz .LBB6_37
.LBB6_34:                               ;   in Loop: Header=BB6_15 Depth=3
	v_mov_b32_e32 v9, 0
	v_mov_b32_e32 v10, 0
	s_and_saveexec_b64 s[30:31], s[28:29]
	s_cbranch_execz .LBB6_14
	s_branch .LBB6_42
.LBB6_35:                               ;   in Loop: Header=BB6_15 Depth=3
	global_load_dwordx2 v[10:11], v[8:9], off
	s_or_b64 exec, exec, s[30:31]
	s_and_b64 vcc, exec, s[6:7]
	s_waitcnt vmcnt(0)
	ds_write_b64 v22, v[10:11]
	s_cbranch_vccnz .LBB6_29
.LBB6_36:                               ;   in Loop: Header=BB6_15 Depth=3
	s_mov_b64 s[28:29], 0
                                        ; implicit-def: $vgpr8
	s_cbranch_execz .LBB6_34
.LBB6_37:                               ;   in Loop: Header=BB6_15 Depth=3
                                        ; implicit-def: $vgpr8
	s_and_saveexec_b64 s[30:31], s[4:5]
	s_cbranch_execz .LBB6_41
; %bb.38:                               ;   in Loop: Header=BB6_15 Depth=3
	v_add_u32_e32 v8, s43, v1
	v_cmp_gt_i32_e32 vcc, s39, v8
	s_mov_b64 s[34:35], s[28:29]
                                        ; implicit-def: $vgpr8
	s_and_saveexec_b64 s[36:37], vcc
; %bb.39:                               ;   in Loop: Header=BB6_15 Depth=3
	v_add_u32_e32 v8, s43, v24
	s_or_b64 s[34:35], s[28:29], exec
; %bb.40:                               ;   in Loop: Header=BB6_15 Depth=3
	s_or_b64 exec, exec, s[36:37]
	s_andn2_b64 s[28:29], s[28:29], exec
	s_and_b64 s[34:35], s[34:35], exec
	s_or_b64 s[28:29], s[28:29], s[34:35]
.LBB6_41:                               ;   in Loop: Header=BB6_15 Depth=3
	s_or_b64 exec, exec, s[30:31]
	v_mov_b32_e32 v9, 0
	v_mov_b32_e32 v10, 0
	s_and_saveexec_b64 s[30:31], s[28:29]
	s_cbranch_execz .LBB6_14
.LBB6_42:                               ;   in Loop: Header=BB6_15 Depth=3
	v_ashrrev_i32_e32 v9, 31, v8
	v_lshlrev_b64 v[8:9], 3, v[8:9]
	v_mov_b32_e32 v10, s19
	v_add_co_u32_e32 v8, vcc, s18, v8
	v_addc_co_u32_e32 v9, vcc, v10, v9, vcc
	global_load_dwordx2 v[9:10], v[8:9], off
	s_branch .LBB6_14
.LBB6_43:                               ;   in Loop: Header=BB6_10 Depth=1
	v_cmp_gt_i32_e32 vcc, s39, v7
	s_and_b64 s[12:13], s[20:21], vcc
	s_and_saveexec_b64 s[4:5], s[12:13]
	s_cbranch_execz .LBB6_9
; %bb.44:                               ;   in Loop: Header=BB6_10 Depth=1
	v_add_u32_e32 v7, s40, v7
	v_ashrrev_i32_e32 v8, 31, v7
	s_and_saveexec_b64 s[12:13], s[24:25]
	s_xor_b64 s[12:13], exec, s[12:13]
	s_cbranch_execz .LBB6_49
; %bb.45:                               ;   in Loop: Header=BB6_10 Depth=1
	s_mov_b64 s[28:29], -1
	s_and_b64 vcc, exec, s[26:27]
	s_cbranch_vccz .LBB6_47
; %bb.46:                               ;   in Loop: Header=BB6_10 Depth=1
	v_mul_lo_u32 v11, s15, v7
	v_mul_lo_u32 v24, s14, v8
	v_mad_u64_u32 v[9:10], s[28:29], s14, v7, 0
	v_mul_f32_e32 v28, v2, v23
	v_fmac_f32_e32 v28, v3, v26
	v_add3_u32 v10, v10, v24, v11
	v_lshlrev_b64 v[9:10], 3, v[9:10]
	v_mul_f32_e64 v11, v23, -v3
	v_add_co_u32_e32 v9, vcc, v18, v9
	v_addc_co_u32_e32 v10, vcc, v19, v10, vcc
	global_load_dwordx2 v[24:25], v[9:10], off
	v_fmac_f32_e32 v11, v2, v26
	s_mov_b64 s[28:29], 0
	s_waitcnt vmcnt(0)
	v_fmac_f32_e32 v11, v4, v24
	v_fmac_f32_e32 v28, v5, v24
	v_fma_f32 v27, -v5, v25, v11
	v_fmac_f32_e32 v28, v4, v25
	global_store_dwordx2 v[9:10], v[27:28], off
.LBB6_47:                               ;   in Loop: Header=BB6_10 Depth=1
	s_andn2_b64 vcc, exec, s[28:29]
	s_cbranch_vccnz .LBB6_49
; %bb.48:                               ;   in Loop: Header=BB6_10 Depth=1
	v_lshlrev_b64 v[7:8], 3, v[7:8]
	v_mul_f32_e64 v11, v23, -v3
	v_add_co_u32_e32 v7, vcc, v20, v7
	v_addc_co_u32_e32 v8, vcc, v21, v8, vcc
	global_load_dwordx2 v[9:10], v[7:8], off
	v_mul_f32_e32 v24, v2, v23
	v_fmac_f32_e32 v11, v2, v26
	v_fmac_f32_e32 v24, v3, v26
                                        ; implicit-def: $vgpr26
	s_waitcnt vmcnt(0)
	v_fmac_f32_e32 v11, v4, v9
	v_fmac_f32_e32 v24, v5, v9
	v_fma_f32 v23, -v5, v10, v11
	v_fmac_f32_e32 v24, v4, v10
	global_store_dwordx2 v[7:8], v[23:24], off
                                        ; implicit-def: $vgpr23
                                        ; implicit-def: $vgpr7
.LBB6_49:                               ;   in Loop: Header=BB6_10 Depth=1
	s_andn2_saveexec_b64 s[12:13], s[12:13]
	s_cbranch_execz .LBB6_9
; %bb.50:                               ;   in Loop: Header=BB6_10 Depth=1
	v_mul_f32_e64 v9, v23, -v3
	v_mul_f32_e32 v10, v2, v23
	v_fmac_f32_e32 v9, v2, v26
	v_fmac_f32_e32 v10, v3, v26
	s_mov_b64 s[12:13], -1
	s_and_b64 vcc, exec, s[26:27]
	s_cbranch_vccz .LBB6_52
; %bb.51:                               ;   in Loop: Header=BB6_10 Depth=1
	v_mul_lo_u32 v11, s15, v7
	v_mul_lo_u32 v25, s14, v8
	v_mad_u64_u32 v[23:24], s[12:13], s14, v7, 0
	s_mov_b64 s[12:13], 0
	v_add3_u32 v24, v24, v25, v11
	v_lshlrev_b64 v[23:24], 3, v[23:24]
	v_add_co_u32_e32 v23, vcc, v18, v23
	v_addc_co_u32_e32 v24, vcc, v19, v24, vcc
	global_store_dwordx2 v[23:24], v[9:10], off
.LBB6_52:                               ;   in Loop: Header=BB6_10 Depth=1
	s_andn2_b64 vcc, exec, s[12:13]
	s_cbranch_vccnz .LBB6_9
; %bb.53:                               ;   in Loop: Header=BB6_10 Depth=1
	v_lshlrev_b64 v[7:8], 3, v[7:8]
	v_add_co_u32_e32 v7, vcc, v20, v7
	v_addc_co_u32_e32 v8, vcc, v21, v8, vcc
	global_store_dwordx2 v[7:8], v[9:10], off
	s_branch .LBB6_9
.LBB6_54:
	s_endpgm
	.section	.rodata,"a",@progbits
	.p2align	6, 0x0
	.amdhsa_kernel _ZN9rocsparseL29bsrmm_general_blockdim_kernelILj32ELj32Eii21rocsparse_complex_numIfES2_S2_S2_EEvb20rocsparse_direction_T2_S4_llNS_24const_host_device_scalarIT6_EEPKT1_PKS4_PKT3_S4_PKT4_llS7_PT5_ll16rocsparse_order_21rocsparse_index_base_b
		.amdhsa_group_segment_fixed_size 16384
		.amdhsa_private_segment_fixed_size 0
		.amdhsa_kernarg_size 140
		.amdhsa_user_sgpr_count 6
		.amdhsa_user_sgpr_private_segment_buffer 1
		.amdhsa_user_sgpr_dispatch_ptr 0
		.amdhsa_user_sgpr_queue_ptr 0
		.amdhsa_user_sgpr_kernarg_segment_ptr 1
		.amdhsa_user_sgpr_dispatch_id 0
		.amdhsa_user_sgpr_flat_scratch_init 0
		.amdhsa_user_sgpr_private_segment_size 0
		.amdhsa_uses_dynamic_stack 0
		.amdhsa_system_sgpr_private_segment_wavefront_offset 0
		.amdhsa_system_sgpr_workgroup_id_x 1
		.amdhsa_system_sgpr_workgroup_id_y 1
		.amdhsa_system_sgpr_workgroup_id_z 0
		.amdhsa_system_sgpr_workgroup_info 0
		.amdhsa_system_vgpr_workitem_id 1
		.amdhsa_next_free_vgpr 47
		.amdhsa_next_free_sgpr 61
		.amdhsa_reserve_vcc 1
		.amdhsa_reserve_flat_scratch 0
		.amdhsa_float_round_mode_32 0
		.amdhsa_float_round_mode_16_64 0
		.amdhsa_float_denorm_mode_32 3
		.amdhsa_float_denorm_mode_16_64 3
		.amdhsa_dx10_clamp 1
		.amdhsa_ieee_mode 1
		.amdhsa_fp16_overflow 0
		.amdhsa_exception_fp_ieee_invalid_op 0
		.amdhsa_exception_fp_denorm_src 0
		.amdhsa_exception_fp_ieee_div_zero 0
		.amdhsa_exception_fp_ieee_overflow 0
		.amdhsa_exception_fp_ieee_underflow 0
		.amdhsa_exception_fp_ieee_inexact 0
		.amdhsa_exception_int_div_zero 0
	.end_amdhsa_kernel
	.section	.text._ZN9rocsparseL29bsrmm_general_blockdim_kernelILj32ELj32Eii21rocsparse_complex_numIfES2_S2_S2_EEvb20rocsparse_direction_T2_S4_llNS_24const_host_device_scalarIT6_EEPKT1_PKS4_PKT3_S4_PKT4_llS7_PT5_ll16rocsparse_order_21rocsparse_index_base_b,"axG",@progbits,_ZN9rocsparseL29bsrmm_general_blockdim_kernelILj32ELj32Eii21rocsparse_complex_numIfES2_S2_S2_EEvb20rocsparse_direction_T2_S4_llNS_24const_host_device_scalarIT6_EEPKT1_PKS4_PKT3_S4_PKT4_llS7_PT5_ll16rocsparse_order_21rocsparse_index_base_b,comdat
.Lfunc_end6:
	.size	_ZN9rocsparseL29bsrmm_general_blockdim_kernelILj32ELj32Eii21rocsparse_complex_numIfES2_S2_S2_EEvb20rocsparse_direction_T2_S4_llNS_24const_host_device_scalarIT6_EEPKT1_PKS4_PKT3_S4_PKT4_llS7_PT5_ll16rocsparse_order_21rocsparse_index_base_b, .Lfunc_end6-_ZN9rocsparseL29bsrmm_general_blockdim_kernelILj32ELj32Eii21rocsparse_complex_numIfES2_S2_S2_EEvb20rocsparse_direction_T2_S4_llNS_24const_host_device_scalarIT6_EEPKT1_PKS4_PKT3_S4_PKT4_llS7_PT5_ll16rocsparse_order_21rocsparse_index_base_b
                                        ; -- End function
	.set _ZN9rocsparseL29bsrmm_general_blockdim_kernelILj32ELj32Eii21rocsparse_complex_numIfES2_S2_S2_EEvb20rocsparse_direction_T2_S4_llNS_24const_host_device_scalarIT6_EEPKT1_PKS4_PKT3_S4_PKT4_llS7_PT5_ll16rocsparse_order_21rocsparse_index_base_b.num_vgpr, 47
	.set _ZN9rocsparseL29bsrmm_general_blockdim_kernelILj32ELj32Eii21rocsparse_complex_numIfES2_S2_S2_EEvb20rocsparse_direction_T2_S4_llNS_24const_host_device_scalarIT6_EEPKT1_PKS4_PKT3_S4_PKT4_llS7_PT5_ll16rocsparse_order_21rocsparse_index_base_b.num_agpr, 0
	.set _ZN9rocsparseL29bsrmm_general_blockdim_kernelILj32ELj32Eii21rocsparse_complex_numIfES2_S2_S2_EEvb20rocsparse_direction_T2_S4_llNS_24const_host_device_scalarIT6_EEPKT1_PKS4_PKT3_S4_PKT4_llS7_PT5_ll16rocsparse_order_21rocsparse_index_base_b.numbered_sgpr, 46
	.set _ZN9rocsparseL29bsrmm_general_blockdim_kernelILj32ELj32Eii21rocsparse_complex_numIfES2_S2_S2_EEvb20rocsparse_direction_T2_S4_llNS_24const_host_device_scalarIT6_EEPKT1_PKS4_PKT3_S4_PKT4_llS7_PT5_ll16rocsparse_order_21rocsparse_index_base_b.num_named_barrier, 0
	.set _ZN9rocsparseL29bsrmm_general_blockdim_kernelILj32ELj32Eii21rocsparse_complex_numIfES2_S2_S2_EEvb20rocsparse_direction_T2_S4_llNS_24const_host_device_scalarIT6_EEPKT1_PKS4_PKT3_S4_PKT4_llS7_PT5_ll16rocsparse_order_21rocsparse_index_base_b.private_seg_size, 0
	.set _ZN9rocsparseL29bsrmm_general_blockdim_kernelILj32ELj32Eii21rocsparse_complex_numIfES2_S2_S2_EEvb20rocsparse_direction_T2_S4_llNS_24const_host_device_scalarIT6_EEPKT1_PKS4_PKT3_S4_PKT4_llS7_PT5_ll16rocsparse_order_21rocsparse_index_base_b.uses_vcc, 1
	.set _ZN9rocsparseL29bsrmm_general_blockdim_kernelILj32ELj32Eii21rocsparse_complex_numIfES2_S2_S2_EEvb20rocsparse_direction_T2_S4_llNS_24const_host_device_scalarIT6_EEPKT1_PKS4_PKT3_S4_PKT4_llS7_PT5_ll16rocsparse_order_21rocsparse_index_base_b.uses_flat_scratch, 0
	.set _ZN9rocsparseL29bsrmm_general_blockdim_kernelILj32ELj32Eii21rocsparse_complex_numIfES2_S2_S2_EEvb20rocsparse_direction_T2_S4_llNS_24const_host_device_scalarIT6_EEPKT1_PKS4_PKT3_S4_PKT4_llS7_PT5_ll16rocsparse_order_21rocsparse_index_base_b.has_dyn_sized_stack, 0
	.set _ZN9rocsparseL29bsrmm_general_blockdim_kernelILj32ELj32Eii21rocsparse_complex_numIfES2_S2_S2_EEvb20rocsparse_direction_T2_S4_llNS_24const_host_device_scalarIT6_EEPKT1_PKS4_PKT3_S4_PKT4_llS7_PT5_ll16rocsparse_order_21rocsparse_index_base_b.has_recursion, 0
	.set _ZN9rocsparseL29bsrmm_general_blockdim_kernelILj32ELj32Eii21rocsparse_complex_numIfES2_S2_S2_EEvb20rocsparse_direction_T2_S4_llNS_24const_host_device_scalarIT6_EEPKT1_PKS4_PKT3_S4_PKT4_llS7_PT5_ll16rocsparse_order_21rocsparse_index_base_b.has_indirect_call, 0
	.section	.AMDGPU.csdata,"",@progbits
; Kernel info:
; codeLenInByte = 2680
; TotalNumSgprs: 50
; NumVgprs: 47
; ScratchSize: 0
; MemoryBound: 0
; FloatMode: 240
; IeeeMode: 1
; LDSByteSize: 16384 bytes/workgroup (compile time only)
; SGPRBlocks: 8
; VGPRBlocks: 11
; NumSGPRsForWavesPerEU: 65
; NumVGPRsForWavesPerEU: 47
; Occupancy: 5
; WaveLimiterHint : 0
; COMPUTE_PGM_RSRC2:SCRATCH_EN: 0
; COMPUTE_PGM_RSRC2:USER_SGPR: 6
; COMPUTE_PGM_RSRC2:TRAP_HANDLER: 0
; COMPUTE_PGM_RSRC2:TGID_X_EN: 1
; COMPUTE_PGM_RSRC2:TGID_Y_EN: 1
; COMPUTE_PGM_RSRC2:TGID_Z_EN: 0
; COMPUTE_PGM_RSRC2:TIDIG_COMP_CNT: 1
	.section	.text._ZN9rocsparseL29bsrmm_general_blockdim_kernelILj32ELj32Eli21rocsparse_complex_numIfES2_S2_S2_EEvb20rocsparse_direction_T2_S4_llNS_24const_host_device_scalarIT6_EEPKT1_PKS4_PKT3_S4_PKT4_llS7_PT5_ll16rocsparse_order_21rocsparse_index_base_b,"axG",@progbits,_ZN9rocsparseL29bsrmm_general_blockdim_kernelILj32ELj32Eli21rocsparse_complex_numIfES2_S2_S2_EEvb20rocsparse_direction_T2_S4_llNS_24const_host_device_scalarIT6_EEPKT1_PKS4_PKT3_S4_PKT4_llS7_PT5_ll16rocsparse_order_21rocsparse_index_base_b,comdat
	.globl	_ZN9rocsparseL29bsrmm_general_blockdim_kernelILj32ELj32Eli21rocsparse_complex_numIfES2_S2_S2_EEvb20rocsparse_direction_T2_S4_llNS_24const_host_device_scalarIT6_EEPKT1_PKS4_PKT3_S4_PKT4_llS7_PT5_ll16rocsparse_order_21rocsparse_index_base_b ; -- Begin function _ZN9rocsparseL29bsrmm_general_blockdim_kernelILj32ELj32Eli21rocsparse_complex_numIfES2_S2_S2_EEvb20rocsparse_direction_T2_S4_llNS_24const_host_device_scalarIT6_EEPKT1_PKS4_PKT3_S4_PKT4_llS7_PT5_ll16rocsparse_order_21rocsparse_index_base_b
	.p2align	8
	.type	_ZN9rocsparseL29bsrmm_general_blockdim_kernelILj32ELj32Eli21rocsparse_complex_numIfES2_S2_S2_EEvb20rocsparse_direction_T2_S4_llNS_24const_host_device_scalarIT6_EEPKT1_PKS4_PKT3_S4_PKT4_llS7_PT5_ll16rocsparse_order_21rocsparse_index_base_b,@function
_ZN9rocsparseL29bsrmm_general_blockdim_kernelILj32ELj32Eli21rocsparse_complex_numIfES2_S2_S2_EEvb20rocsparse_direction_T2_S4_llNS_24const_host_device_scalarIT6_EEPKT1_PKS4_PKT3_S4_PKT4_llS7_PT5_ll16rocsparse_order_21rocsparse_index_base_b: ; @_ZN9rocsparseL29bsrmm_general_blockdim_kernelILj32ELj32Eli21rocsparse_complex_numIfES2_S2_S2_EEvb20rocsparse_direction_T2_S4_llNS_24const_host_device_scalarIT6_EEPKT1_PKS4_PKT3_S4_PKT4_llS7_PT5_ll16rocsparse_order_21rocsparse_index_base_b
; %bb.0:
	s_load_dwordx2 s[2:3], s[4:5], 0x20
	s_load_dwordx4 s[8:11], s[4:5], 0x80
	s_add_u32 s1, s4, 32
	s_mov_b32 s0, s7
	s_addc_u32 s7, s5, 0
	s_add_u32 s12, s4, 0x60
	s_addc_u32 s13, s5, 0
	s_waitcnt lgkmcnt(0)
	s_bitcmp1_b32 s10, 0
	s_load_dwordx2 s[10:11], s[4:5], 0x60
	s_cselect_b32 s3, s7, s3
	s_cselect_b32 s1, s1, s2
	v_mov_b32_e32 v2, s1
	v_mov_b32_e32 v3, s3
	flat_load_dwordx2 v[2:3], v[2:3]
	s_waitcnt lgkmcnt(0)
	s_cselect_b32 s1, s13, s11
	s_cselect_b32 s2, s12, s10
	v_mov_b32_e32 v4, s2
	v_mov_b32_e32 v5, s1
	flat_load_dwordx2 v[4:5], v[4:5]
	s_waitcnt vmcnt(0)
	v_cmp_eq_f32_e32 vcc, 0, v2
	v_cmp_eq_f32_e64 s[2:3], 0, v3
	s_and_b64 s[12:13], vcc, s[2:3]
	s_mov_b64 s[2:3], -1
	s_and_saveexec_b64 s[10:11], s[12:13]
	s_cbranch_execz .LBB7_2
; %bb.1:
	s_waitcnt lgkmcnt(0)
	v_cmp_neq_f32_e32 vcc, 1.0, v4
	v_cmp_neq_f32_e64 s[2:3], 0, v5
	s_or_b64 s[2:3], vcc, s[2:3]
	s_orn2_b64 s[2:3], s[2:3], exec
.LBB7_2:
	s_or_b64 exec, exec, s[10:11]
	s_and_saveexec_b64 s[10:11], s[2:3]
	s_cbranch_execz .LBB7_50
; %bb.3:
	s_load_dwordx4 s[24:27], s[4:5], 0x0
	s_load_dwordx2 s[12:13], s[4:5], 0x28
	s_mov_b64 s[10:11], 0
	s_mov_b64 s[28:29], 0
	s_waitcnt lgkmcnt(0)
	s_cmp_lt_i32 s6, s26
	s_cselect_b64 s[2:3], -1, 0
	s_cmp_ge_i32 s6, s26
	s_cbranch_scc0 .LBB7_6
; %bb.4:
	s_andn2_b64 vcc, exec, s[2:3]
	s_cbranch_vccz .LBB7_7
.LBB7_5:
	s_load_dword s33, s[4:5], 0x40
	s_waitcnt lgkmcnt(0)
	s_cmp_lt_i32 s33, 1
	s_cbranch_scc0 .LBB7_8
	s_branch .LBB7_50
.LBB7_6:
	s_ashr_i32 s7, s6, 31
	s_lshl_b64 s[14:15], s[6:7], 3
	s_add_u32 s14, s12, s14
	s_addc_u32 s15, s13, s15
	s_load_dwordx2 s[14:15], s[14:15], 0x0
	s_waitcnt lgkmcnt(0)
	s_sub_u32 s28, s14, s9
	s_subb_u32 s29, s15, 0
	s_andn2_b64 vcc, exec, s[2:3]
	s_cbranch_vccnz .LBB7_5
.LBB7_7:
	s_ashr_i32 s7, s6, 31
	s_lshl_b64 s[10:11], s[6:7], 3
	s_add_u32 s10, s12, s10
	s_addc_u32 s11, s13, s11
	s_load_dwordx2 s[10:11], s[10:11], 0x8
	s_waitcnt lgkmcnt(0)
	s_sub_u32 s10, s10, s9
	s_subb_u32 s11, s11, 0
	s_load_dword s33, s[4:5], 0x40
	s_waitcnt lgkmcnt(0)
	s_cmp_lt_i32 s33, 1
	s_cbranch_scc1 .LBB7_50
.LBB7_8:
	s_load_dwordx4 s[12:15], s[4:5], 0x68
	s_load_dwordx4 s[16:19], s[4:5], 0x30
	;; [unrolled: 1-line block ×3, first 2 shown]
	s_bitcmp1_b32 s24, 0
	v_lshl_add_u32 v6, s0, 5, v1
	s_cselect_b64 s[4:5], -1, 0
	v_ashrrev_i32_e32 v7, 31, v6
	s_xor_b64 s[30:31], s[4:5], -1
	s_waitcnt lgkmcnt(0)
	v_mul_lo_u32 v18, s22, v7
	v_mul_lo_u32 v19, s23, v6
	v_mad_u64_u32 v[14:15], s[4:5], s22, v6, 0
	v_lshlrev_b64 v[16:17], 3, v[6:7]
	v_mov_b32_e32 v12, s21
	v_add3_u32 v15, v15, v18, v19
	v_add_co_u32_e32 v11, vcc, s20, v16
	v_lshlrev_b64 v[14:15], 3, v[14:15]
	v_addc_co_u32_e32 v12, vcc, v12, v17, vcc
	v_mov_b32_e32 v18, s21
	v_add_co_u32_e32 v14, vcc, s20, v14
	v_cmp_gt_i32_e64 s[0:1], s27, v6
	v_addc_co_u32_e32 v15, vcc, v18, v15, vcc
	s_cmp_lg_u32 s25, 0
	s_mul_i32 s42, s33, s6
	s_cselect_b64 s[6:7], -1, 0
	s_and_b64 s[20:21], s[2:3], s[0:1]
	v_cmp_neq_f32_e32 vcc, 0, v4
	v_cmp_neq_f32_e64 s[2:3], 0, v5
	s_or_b64 s[24:25], vcc, s[2:3]
	v_mul_lo_u32 v19, s14, v7
	v_mul_lo_u32 v21, s15, v6
	v_mad_u64_u32 v[6:7], s[2:3], s14, v6, 0
	v_mov_b32_e32 v18, s13
	v_add_co_u32_e32 v16, vcc, s12, v16
	v_add3_u32 v7, v7, v19, v21
	v_lshlrev_b64 v[6:7], 3, v[6:7]
	v_addc_co_u32_e32 v17, vcc, v18, v17, vcc
	v_mov_b32_e32 v8, s10
	v_mov_b32_e32 v19, s13
	v_add_co_u32_e32 v18, vcc, s12, v6
	v_mov_b32_e32 v9, s11
	v_addc_co_u32_e32 v19, vcc, v19, v7, vcc
	v_cmp_lt_i64_e32 vcc, s[28:29], v[8:9]
	v_lshlrev_b32_e32 v10, 3, v0
	v_or_b32_e32 v20, 0x2000, v10
	v_lshlrev_b32_e32 v13, 8, v1
	s_cmp_lg_u32 s8, 1
	v_cndmask_b32_e64 v6, 0, 1, vcc
	s_mov_b32 s43, 0
	s_mul_i32 s44, s33, s33
	s_cselect_b64 s[26:27], -1, 0
	v_cmp_ne_u32_e64 s[2:3], 1, v6
	v_add_u32_e32 v20, v20, v13
	s_branch .LBB7_10
.LBB7_9:                                ;   in Loop: Header=BB7_10 Depth=1
	s_or_b64 exec, exec, s[4:5]
	s_add_i32 s43, s43, 32
	s_cmp_lt_i32 s43, s33
	s_cbranch_scc0 .LBB7_50
.LBB7_10:                               ; =>This Loop Header: Depth=1
                                        ;     Child Loop BB7_13 Depth 2
                                        ;       Child Loop BB7_15 Depth 3
	v_add_u32_e32 v22, s43, v0
	v_mov_b32_e32 v21, 0
	s_and_b64 vcc, exec, s[2:3]
	v_cmp_gt_i32_e64 s[4:5], s33, v22
	v_mov_b32_e32 v25, 0
	s_cbranch_vccnz .LBB7_39
; %bb.11:                               ;   in Loop: Header=BB7_10 Depth=1
	v_mul_lo_u32 v23, v22, s33
	v_mov_b32_e32 v21, 0
	s_mov_b64 s[12:13], s[28:29]
	v_mov_b32_e32 v25, 0
	s_branch .LBB7_13
.LBB7_12:                               ;   in Loop: Header=BB7_13 Depth=2
	s_add_u32 s12, s12, 1
	v_mov_b32_e32 v6, s10
	s_addc_u32 s13, s13, 0
	v_mov_b32_e32 v7, s11
	v_cmp_ge_i64_e32 vcc, s[12:13], v[6:7]
	s_cbranch_vccnz .LBB7_39
.LBB7_13:                               ;   Parent Loop BB7_10 Depth=1
                                        ; =>  This Loop Header: Depth=2
                                        ;       Child Loop BB7_15 Depth 3
	s_lshl_b64 s[34:35], s[12:13], 2
	s_add_u32 s34, s16, s34
	s_addc_u32 s35, s17, s35
	s_load_dword s8, s[34:35], 0x0
	s_mul_i32 s35, s13, s44
	s_mul_hi_u32 s36, s12, s44
	s_mul_i32 s34, s12, s44
	s_add_i32 s35, s36, s35
	s_waitcnt lgkmcnt(0)
	s_sub_i32 s8, s8, s9
	s_lshl_b64 s[34:35], s[34:35], 3
	s_mul_i32 s36, s8, s33
	s_add_u32 s8, s18, s34
	s_addc_u32 s45, s19, s35
	v_add_u32_e32 v24, s36, v0
	s_mov_b32 s46, 0
	s_branch .LBB7_15
.LBB7_14:                               ;   in Loop: Header=BB7_15 Depth=3
	s_or_b64 exec, exec, s[34:35]
	v_add_u32_e32 v6, v10, v13
	s_waitcnt vmcnt(0)
	ds_write_b64 v6, v[8:9]
	s_waitcnt lgkmcnt(0)
	s_barrier
	ds_read2_b64 v[6:9], v10 offset1:32
	ds_read_b128 v[26:29], v13 offset:8192
	ds_read_b128 v[30:33], v13 offset:8208
	;; [unrolled: 1-line block ×4, first 2 shown]
	ds_read2_b64 v[42:45], v10 offset0:64 offset1:96
	s_waitcnt lgkmcnt(4)
	v_fmac_f32_e32 v25, v6, v26
	v_fma_f32 v25, -v7, v27, v25
	v_fmac_f32_e32 v21, v7, v26
	v_fmac_f32_e32 v25, v8, v28
	;; [unrolled: 1-line block ×3, first 2 shown]
	v_fma_f32 v6, -v9, v29, v25
	v_fmac_f32_e32 v21, v9, v28
	s_waitcnt lgkmcnt(0)
	v_fmac_f32_e32 v6, v42, v30
	v_fmac_f32_e32 v21, v8, v29
	v_fma_f32 v25, -v43, v31, v6
	ds_read2_b64 v[6:9], v10 offset0:128 offset1:160
	v_fmac_f32_e32 v25, v44, v32
	v_fmac_f32_e32 v21, v43, v30
	v_fma_f32 v25, -v45, v33, v25
	v_fmac_f32_e32 v21, v42, v31
	s_waitcnt lgkmcnt(0)
	v_fmac_f32_e32 v25, v6, v34
	v_fmac_f32_e32 v21, v45, v32
	v_fma_f32 v29, -v7, v35, v25
	ds_read2_b64 v[25:28], v10 offset0:192 offset1:224
	v_fmac_f32_e32 v21, v44, v33
	v_fmac_f32_e32 v21, v7, v34
	;; [unrolled: 1-line block ×4, first 2 shown]
	v_fma_f32 v6, -v9, v37, v29
	v_fmac_f32_e32 v21, v9, v36
	v_fmac_f32_e32 v21, v8, v37
	s_waitcnt lgkmcnt(0)
	v_fmac_f32_e32 v6, v25, v38
	v_add_u32_e32 v37, 0x800, v10
	v_fma_f32 v33, -v26, v39, v6
	ds_read2_b64 v[6:9], v37 offset1:32
	ds_read_b128 v[29:32], v13 offset:8256
	v_fmac_f32_e32 v21, v26, v38
	v_fmac_f32_e32 v33, v27, v40
	v_fmac_f32_e32 v21, v25, v39
	v_fma_f32 v33, -v28, v41, v33
	v_fmac_f32_e32 v21, v28, v40
	s_waitcnt lgkmcnt(0)
	v_fmac_f32_e32 v33, v6, v29
	v_fmac_f32_e32 v21, v27, v41
	ds_read_b128 v[25:28], v13 offset:8272
	v_fma_f32 v38, -v7, v30, v33
	ds_read2_b64 v[33:36], v37 offset0:64 offset1:96
	v_fmac_f32_e32 v21, v7, v29
	v_fmac_f32_e32 v38, v8, v31
	;; [unrolled: 1-line block ×3, first 2 shown]
	v_fma_f32 v6, -v9, v32, v38
	v_fmac_f32_e32 v21, v9, v31
	s_waitcnt lgkmcnt(0)
	v_fmac_f32_e32 v6, v33, v25
	v_fmac_f32_e32 v21, v8, v32
	v_fma_f32 v38, -v34, v26, v6
	ds_read2_b64 v[6:9], v37 offset0:128 offset1:160
	ds_read_b128 v[29:32], v13 offset:8288
	v_fmac_f32_e32 v21, v34, v25
	v_fmac_f32_e32 v38, v35, v27
	;; [unrolled: 1-line block ×3, first 2 shown]
	v_fma_f32 v33, -v36, v28, v38
	v_fmac_f32_e32 v21, v36, v27
	s_waitcnt lgkmcnt(0)
	v_fmac_f32_e32 v33, v6, v29
	v_fmac_f32_e32 v21, v35, v28
	ds_read_b128 v[25:28], v13 offset:8304
	v_fma_f32 v38, -v7, v30, v33
	ds_read2_b64 v[33:36], v37 offset0:192 offset1:224
	v_fmac_f32_e32 v21, v7, v29
	v_fmac_f32_e32 v38, v8, v31
	;; [unrolled: 1-line block ×3, first 2 shown]
	v_fma_f32 v6, -v9, v32, v38
	v_fmac_f32_e32 v21, v9, v31
	s_waitcnt lgkmcnt(0)
	v_fmac_f32_e32 v6, v33, v25
	v_add_u32_e32 v38, 0x1000, v10
	v_fmac_f32_e32 v21, v8, v32
	v_fma_f32 v37, -v34, v26, v6
	ds_read2_b64 v[6:9], v38 offset1:32
	ds_read_b128 v[29:32], v13 offset:8320
	v_fmac_f32_e32 v21, v34, v25
	v_fmac_f32_e32 v37, v35, v27
	;; [unrolled: 1-line block ×3, first 2 shown]
	v_fma_f32 v33, -v36, v28, v37
	v_fmac_f32_e32 v21, v36, v27
	s_waitcnt lgkmcnt(0)
	v_fmac_f32_e32 v33, v6, v29
	v_fmac_f32_e32 v21, v35, v28
	ds_read_b128 v[25:28], v13 offset:8336
	v_fma_f32 v37, -v7, v30, v33
	ds_read2_b64 v[33:36], v38 offset0:64 offset1:96
	v_fmac_f32_e32 v21, v7, v29
	v_fmac_f32_e32 v37, v8, v31
	;; [unrolled: 1-line block ×3, first 2 shown]
	v_fma_f32 v6, -v9, v32, v37
	v_fmac_f32_e32 v21, v9, v31
	s_waitcnt lgkmcnt(0)
	v_fmac_f32_e32 v6, v33, v25
	v_fmac_f32_e32 v21, v8, v32
	v_fma_f32 v37, -v34, v26, v6
	ds_read2_b64 v[6:9], v38 offset0:128 offset1:160
	ds_read_b128 v[29:32], v13 offset:8352
	v_fmac_f32_e32 v21, v34, v25
	v_fmac_f32_e32 v37, v35, v27
	;; [unrolled: 1-line block ×3, first 2 shown]
	v_fma_f32 v33, -v36, v28, v37
	v_fmac_f32_e32 v21, v36, v27
	s_waitcnt lgkmcnt(0)
	v_fmac_f32_e32 v33, v6, v29
	v_fmac_f32_e32 v21, v35, v28
	ds_read_b128 v[25:28], v13 offset:8368
	v_fma_f32 v37, -v7, v30, v33
	ds_read2_b64 v[33:36], v38 offset0:192 offset1:224
	v_fmac_f32_e32 v21, v7, v29
	v_fmac_f32_e32 v37, v8, v31
	;; [unrolled: 1-line block ×3, first 2 shown]
	v_fma_f32 v6, -v9, v32, v37
	v_fmac_f32_e32 v21, v9, v31
	s_waitcnt lgkmcnt(0)
	v_fmac_f32_e32 v6, v33, v25
	v_add_u32_e32 v38, 0x1800, v10
	v_fmac_f32_e32 v21, v8, v32
	v_fma_f32 v37, -v34, v26, v6
	ds_read2_b64 v[6:9], v38 offset1:32
	ds_read_b128 v[29:32], v13 offset:8384
	v_fmac_f32_e32 v21, v34, v25
	v_fmac_f32_e32 v37, v35, v27
	;; [unrolled: 1-line block ×3, first 2 shown]
	v_fma_f32 v33, -v36, v28, v37
	v_fmac_f32_e32 v21, v36, v27
	s_waitcnt lgkmcnt(0)
	v_fmac_f32_e32 v33, v6, v29
	v_fmac_f32_e32 v21, v35, v28
	ds_read_b128 v[25:28], v13 offset:8400
	v_fma_f32 v37, -v7, v30, v33
	ds_read2_b64 v[33:36], v38 offset0:64 offset1:96
	v_fmac_f32_e32 v21, v7, v29
	v_fmac_f32_e32 v37, v8, v31
	v_fmac_f32_e32 v21, v6, v30
	v_fma_f32 v6, -v9, v32, v37
	v_fmac_f32_e32 v21, v9, v31
	s_waitcnt lgkmcnt(0)
	v_fmac_f32_e32 v6, v33, v25
	v_fmac_f32_e32 v21, v8, v32
	v_fma_f32 v37, -v34, v26, v6
	ds_read2_b64 v[6:9], v38 offset0:128 offset1:160
	ds_read_b128 v[29:32], v13 offset:8416
	v_fmac_f32_e32 v21, v34, v25
	v_fmac_f32_e32 v37, v35, v27
	;; [unrolled: 1-line block ×3, first 2 shown]
	v_fma_f32 v33, -v36, v28, v37
	v_fmac_f32_e32 v21, v36, v27
	s_waitcnt lgkmcnt(0)
	v_fmac_f32_e32 v33, v6, v29
	v_fmac_f32_e32 v21, v35, v28
	ds_read_b128 v[25:28], v13 offset:8432
	v_fma_f32 v37, -v7, v30, v33
	ds_read2_b64 v[33:36], v38 offset0:192 offset1:224
	v_fmac_f32_e32 v21, v7, v29
	v_fmac_f32_e32 v21, v6, v30
	;; [unrolled: 1-line block ×4, first 2 shown]
	v_fma_f32 v6, -v9, v32, v37
	v_fmac_f32_e32 v21, v8, v32
	s_waitcnt lgkmcnt(0)
	v_fmac_f32_e32 v6, v33, v25
	v_fmac_f32_e32 v21, v34, v25
	v_fma_f32 v6, -v34, v26, v6
	v_fmac_f32_e32 v21, v33, v26
	v_fmac_f32_e32 v6, v35, v27
	v_fmac_f32_e32 v21, v36, v27
	s_add_i32 s46, s46, 32
	v_fma_f32 v25, -v36, v28, v6
	v_fmac_f32_e32 v21, v35, v28
	s_cmp_ge_i32 s46, s33
	s_barrier
	s_cbranch_scc1 .LBB7_12
.LBB7_15:                               ;   Parent Loop BB7_10 Depth=1
                                        ;     Parent Loop BB7_13 Depth=2
                                        ; =>    This Inner Loop Header: Depth=3
	s_and_b64 vcc, exec, s[30:31]
	s_cbranch_vccz .LBB7_21
; %bb.16:                               ;   in Loop: Header=BB7_15 Depth=3
	s_mov_b64 s[36:37], 0
	s_mov_b64 s[34:35], 0
                                        ; implicit-def: $vgpr6_vgpr7
	s_and_saveexec_b64 s[38:39], s[0:1]
	s_cbranch_execz .LBB7_20
; %bb.17:                               ;   in Loop: Header=BB7_15 Depth=3
	v_add_u32_e32 v6, s46, v0
	v_cmp_gt_i32_e32 vcc, s33, v6
                                        ; implicit-def: $vgpr6_vgpr7
	s_and_saveexec_b64 s[40:41], vcc
	s_xor_b64 s[40:41], exec, s[40:41]
	s_cbranch_execz .LBB7_19
; %bb.18:                               ;   in Loop: Header=BB7_15 Depth=3
	v_add_u32_e32 v6, s46, v24
	v_ashrrev_i32_e32 v7, 31, v6
	v_mul_lo_u32 v8, s22, v7
	v_mul_lo_u32 v9, s23, v6
	v_mad_u64_u32 v[6:7], s[48:49], s22, v6, 0
	s_mov_b64 s[34:35], exec
	v_add3_u32 v7, v7, v8, v9
	v_lshlrev_b64 v[6:7], 3, v[6:7]
	v_add_co_u32_e32 v6, vcc, v11, v6
	v_addc_co_u32_e32 v7, vcc, v12, v7, vcc
.LBB7_19:                               ;   in Loop: Header=BB7_15 Depth=3
	s_or_b64 exec, exec, s[40:41]
	s_and_b64 s[34:35], s[34:35], exec
.LBB7_20:                               ;   in Loop: Header=BB7_15 Depth=3
	s_or_b64 exec, exec, s[38:39]
	s_and_b64 vcc, exec, s[36:37]
	s_cbranch_vccnz .LBB7_22
	s_branch .LBB7_27
.LBB7_21:                               ;   in Loop: Header=BB7_15 Depth=3
	s_mov_b64 s[34:35], 0
                                        ; implicit-def: $vgpr6_vgpr7
	s_cbranch_execz .LBB7_27
.LBB7_22:                               ;   in Loop: Header=BB7_15 Depth=3
                                        ; implicit-def: $vgpr6_vgpr7
	s_and_saveexec_b64 s[36:37], s[0:1]
	s_cbranch_execz .LBB7_26
; %bb.23:                               ;   in Loop: Header=BB7_15 Depth=3
	v_add_u32_e32 v6, s46, v0
	v_cmp_gt_i32_e32 vcc, s33, v6
	s_mov_b64 s[40:41], s[34:35]
                                        ; implicit-def: $vgpr6_vgpr7
	s_and_saveexec_b64 s[38:39], vcc
; %bb.24:                               ;   in Loop: Header=BB7_15 Depth=3
	v_add_u32_e32 v6, s46, v24
	v_ashrrev_i32_e32 v7, 31, v6
	v_lshlrev_b64 v[6:7], 3, v[6:7]
	s_or_b64 s[40:41], s[34:35], exec
	v_add_co_u32_e32 v6, vcc, v14, v6
	v_addc_co_u32_e32 v7, vcc, v15, v7, vcc
; %bb.25:                               ;   in Loop: Header=BB7_15 Depth=3
	s_or_b64 exec, exec, s[38:39]
	s_andn2_b64 s[34:35], s[34:35], exec
	s_and_b64 s[38:39], s[40:41], exec
	s_or_b64 s[34:35], s[34:35], s[38:39]
.LBB7_26:                               ;   in Loop: Header=BB7_15 Depth=3
	s_or_b64 exec, exec, s[36:37]
.LBB7_27:                               ;   in Loop: Header=BB7_15 Depth=3
	v_mov_b32_e32 v8, 0
	v_mov_b32_e32 v9, 0
	s_and_saveexec_b64 s[36:37], s[34:35]
	s_cbranch_execnz .LBB7_35
; %bb.28:                               ;   in Loop: Header=BB7_15 Depth=3
	s_or_b64 exec, exec, s[36:37]
	s_and_b64 vcc, exec, s[6:7]
	ds_write_b64 v20, v[8:9]
	s_cbranch_vccz .LBB7_36
.LBB7_29:                               ;   in Loop: Header=BB7_15 Depth=3
	s_mov_b64 s[34:35], 0
	s_mov_b64 s[36:37], 0
                                        ; implicit-def: $vgpr6
	s_and_saveexec_b64 s[38:39], s[4:5]
	s_cbranch_execz .LBB7_33
; %bb.30:                               ;   in Loop: Header=BB7_15 Depth=3
	v_add_u32_e32 v7, s46, v1
	v_cmp_gt_i32_e32 vcc, s33, v7
                                        ; implicit-def: $vgpr6
	s_and_saveexec_b64 s[40:41], vcc
	s_xor_b64 s[40:41], exec, s[40:41]
; %bb.31:                               ;   in Loop: Header=BB7_15 Depth=3
	s_mov_b64 s[36:37], exec
	v_mul_lo_u32 v6, v7, s33
; %bb.32:                               ;   in Loop: Header=BB7_15 Depth=3
	s_or_b64 exec, exec, s[40:41]
	s_and_b64 s[36:37], s[36:37], exec
.LBB7_33:                               ;   in Loop: Header=BB7_15 Depth=3
	s_or_b64 exec, exec, s[38:39]
	s_and_b64 vcc, exec, s[34:35]
	s_cbranch_vccz .LBB7_37
.LBB7_34:                               ;   in Loop: Header=BB7_15 Depth=3
	v_add_u32_e32 v6, s46, v1
	v_cmp_gt_i32_e32 vcc, s33, v6
	s_and_b64 s[34:35], s[4:5], vcc
	s_andn2_b64 s[36:37], s[36:37], exec
	s_and_b64 s[34:35], s[34:35], exec
	s_or_b64 s[36:37], s[36:37], s[34:35]
	v_mov_b32_e32 v7, v23
	v_mov_b32_e32 v8, 0
	v_mov_b32_e32 v9, 0
	s_and_saveexec_b64 s[34:35], s[36:37]
	s_cbranch_execz .LBB7_14
	s_branch .LBB7_38
.LBB7_35:                               ;   in Loop: Header=BB7_15 Depth=3
	global_load_dwordx2 v[8:9], v[6:7], off
	s_or_b64 exec, exec, s[36:37]
	s_and_b64 vcc, exec, s[6:7]
	s_waitcnt vmcnt(0)
	ds_write_b64 v20, v[8:9]
	s_cbranch_vccnz .LBB7_29
.LBB7_36:                               ;   in Loop: Header=BB7_15 Depth=3
	s_mov_b64 s[36:37], 0
                                        ; implicit-def: $vgpr6
	s_cbranch_execnz .LBB7_34
.LBB7_37:                               ;   in Loop: Header=BB7_15 Depth=3
	v_mov_b32_e32 v7, v22
	v_mov_b32_e32 v8, 0
	;; [unrolled: 1-line block ×3, first 2 shown]
	s_and_saveexec_b64 s[34:35], s[36:37]
	s_cbranch_execz .LBB7_14
.LBB7_38:                               ;   in Loop: Header=BB7_15 Depth=3
	v_ashrrev_i32_e32 v8, 31, v7
	v_lshlrev_b64 v[7:8], 3, v[7:8]
	v_mov_b32_e32 v9, s45
	v_add_co_u32_e32 v26, vcc, s8, v7
	v_ashrrev_i32_e32 v7, 31, v6
	v_lshlrev_b64 v[6:7], 3, v[6:7]
	v_addc_co_u32_e32 v8, vcc, v9, v8, vcc
	v_add_co_u32_e32 v6, vcc, v26, v6
	v_addc_co_u32_e32 v7, vcc, v8, v7, vcc
	global_load_dwordx2 v[8:9], v[6:7], off
	s_branch .LBB7_14
.LBB7_39:                               ;   in Loop: Header=BB7_10 Depth=1
	v_cmp_gt_i32_e32 vcc, s33, v22
	s_and_b64 s[12:13], s[20:21], vcc
	s_and_saveexec_b64 s[4:5], s[12:13]
	s_cbranch_execz .LBB7_9
; %bb.40:                               ;   in Loop: Header=BB7_10 Depth=1
	v_add_u32_e32 v6, s42, v22
	v_ashrrev_i32_e32 v7, 31, v6
	s_and_saveexec_b64 s[12:13], s[24:25]
	s_xor_b64 s[12:13], exec, s[12:13]
	s_cbranch_execz .LBB7_45
; %bb.41:                               ;   in Loop: Header=BB7_10 Depth=1
	s_mov_b64 s[34:35], -1
	s_and_b64 vcc, exec, s[26:27]
	s_cbranch_vccz .LBB7_43
; %bb.42:                               ;   in Loop: Header=BB7_10 Depth=1
	v_mul_lo_u32 v22, s15, v6
	v_mul_lo_u32 v23, s14, v7
	v_mad_u64_u32 v[8:9], s[34:35], s14, v6, 0
	v_mul_f32_e64 v24, v21, -v3
	v_mul_f32_e32 v27, v2, v21
	v_add3_u32 v9, v9, v23, v22
	v_lshlrev_b64 v[8:9], 3, v[8:9]
	v_fmac_f32_e32 v24, v2, v25
	v_add_co_u32_e32 v8, vcc, v16, v8
	v_addc_co_u32_e32 v9, vcc, v17, v9, vcc
	global_load_dwordx2 v[22:23], v[8:9], off
	v_fmac_f32_e32 v27, v3, v25
	s_mov_b64 s[34:35], 0
	s_waitcnt vmcnt(0)
	v_fmac_f32_e32 v24, v4, v22
	v_fmac_f32_e32 v27, v5, v22
	v_fma_f32 v26, -v5, v23, v24
	v_fmac_f32_e32 v27, v4, v23
	global_store_dwordx2 v[8:9], v[26:27], off
.LBB7_43:                               ;   in Loop: Header=BB7_10 Depth=1
	s_andn2_b64 vcc, exec, s[34:35]
	s_cbranch_vccnz .LBB7_45
; %bb.44:                               ;   in Loop: Header=BB7_10 Depth=1
	v_lshlrev_b64 v[6:7], 3, v[6:7]
	v_mul_f32_e64 v23, v21, -v3
	v_add_co_u32_e32 v6, vcc, v18, v6
	v_addc_co_u32_e32 v7, vcc, v19, v7, vcc
	global_load_dwordx2 v[8:9], v[6:7], off
	v_mul_f32_e32 v22, v2, v21
	v_fmac_f32_e32 v23, v2, v25
	v_fmac_f32_e32 v22, v3, v25
                                        ; implicit-def: $vgpr25
	s_waitcnt vmcnt(0)
	v_fmac_f32_e32 v23, v4, v8
	v_fmac_f32_e32 v22, v5, v8
	v_fma_f32 v21, -v5, v9, v23
	v_fmac_f32_e32 v22, v4, v9
	global_store_dwordx2 v[6:7], v[21:22], off
                                        ; implicit-def: $vgpr21
                                        ; implicit-def: $vgpr6
.LBB7_45:                               ;   in Loop: Header=BB7_10 Depth=1
	s_andn2_saveexec_b64 s[12:13], s[12:13]
	s_cbranch_execz .LBB7_9
; %bb.46:                               ;   in Loop: Header=BB7_10 Depth=1
	v_mul_f32_e64 v8, v21, -v3
	v_mul_f32_e32 v9, v2, v21
	v_fmac_f32_e32 v8, v2, v25
	v_fmac_f32_e32 v9, v3, v25
	s_mov_b64 s[12:13], -1
	s_and_b64 vcc, exec, s[26:27]
	s_cbranch_vccz .LBB7_48
; %bb.47:                               ;   in Loop: Header=BB7_10 Depth=1
	v_mul_lo_u32 v23, s15, v6
	v_mul_lo_u32 v24, s14, v7
	v_mad_u64_u32 v[21:22], s[12:13], s14, v6, 0
	s_mov_b64 s[12:13], 0
	v_add3_u32 v22, v22, v24, v23
	v_lshlrev_b64 v[21:22], 3, v[21:22]
	v_add_co_u32_e32 v21, vcc, v16, v21
	v_addc_co_u32_e32 v22, vcc, v17, v22, vcc
	global_store_dwordx2 v[21:22], v[8:9], off
.LBB7_48:                               ;   in Loop: Header=BB7_10 Depth=1
	s_andn2_b64 vcc, exec, s[12:13]
	s_cbranch_vccnz .LBB7_9
; %bb.49:                               ;   in Loop: Header=BB7_10 Depth=1
	v_lshlrev_b64 v[6:7], 3, v[6:7]
	v_add_co_u32_e32 v6, vcc, v18, v6
	v_addc_co_u32_e32 v7, vcc, v19, v7, vcc
	global_store_dwordx2 v[6:7], v[8:9], off
	s_branch .LBB7_9
.LBB7_50:
	s_endpgm
	.section	.rodata,"a",@progbits
	.p2align	6, 0x0
	.amdhsa_kernel _ZN9rocsparseL29bsrmm_general_blockdim_kernelILj32ELj32Eli21rocsparse_complex_numIfES2_S2_S2_EEvb20rocsparse_direction_T2_S4_llNS_24const_host_device_scalarIT6_EEPKT1_PKS4_PKT3_S4_PKT4_llS7_PT5_ll16rocsparse_order_21rocsparse_index_base_b
		.amdhsa_group_segment_fixed_size 16384
		.amdhsa_private_segment_fixed_size 0
		.amdhsa_kernarg_size 140
		.amdhsa_user_sgpr_count 6
		.amdhsa_user_sgpr_private_segment_buffer 1
		.amdhsa_user_sgpr_dispatch_ptr 0
		.amdhsa_user_sgpr_queue_ptr 0
		.amdhsa_user_sgpr_kernarg_segment_ptr 1
		.amdhsa_user_sgpr_dispatch_id 0
		.amdhsa_user_sgpr_flat_scratch_init 0
		.amdhsa_user_sgpr_private_segment_size 0
		.amdhsa_uses_dynamic_stack 0
		.amdhsa_system_sgpr_private_segment_wavefront_offset 0
		.amdhsa_system_sgpr_workgroup_id_x 1
		.amdhsa_system_sgpr_workgroup_id_y 1
		.amdhsa_system_sgpr_workgroup_id_z 0
		.amdhsa_system_sgpr_workgroup_info 0
		.amdhsa_system_vgpr_workitem_id 1
		.amdhsa_next_free_vgpr 46
		.amdhsa_next_free_sgpr 61
		.amdhsa_reserve_vcc 1
		.amdhsa_reserve_flat_scratch 0
		.amdhsa_float_round_mode_32 0
		.amdhsa_float_round_mode_16_64 0
		.amdhsa_float_denorm_mode_32 3
		.amdhsa_float_denorm_mode_16_64 3
		.amdhsa_dx10_clamp 1
		.amdhsa_ieee_mode 1
		.amdhsa_fp16_overflow 0
		.amdhsa_exception_fp_ieee_invalid_op 0
		.amdhsa_exception_fp_denorm_src 0
		.amdhsa_exception_fp_ieee_div_zero 0
		.amdhsa_exception_fp_ieee_overflow 0
		.amdhsa_exception_fp_ieee_underflow 0
		.amdhsa_exception_fp_ieee_inexact 0
		.amdhsa_exception_int_div_zero 0
	.end_amdhsa_kernel
	.section	.text._ZN9rocsparseL29bsrmm_general_blockdim_kernelILj32ELj32Eli21rocsparse_complex_numIfES2_S2_S2_EEvb20rocsparse_direction_T2_S4_llNS_24const_host_device_scalarIT6_EEPKT1_PKS4_PKT3_S4_PKT4_llS7_PT5_ll16rocsparse_order_21rocsparse_index_base_b,"axG",@progbits,_ZN9rocsparseL29bsrmm_general_blockdim_kernelILj32ELj32Eli21rocsparse_complex_numIfES2_S2_S2_EEvb20rocsparse_direction_T2_S4_llNS_24const_host_device_scalarIT6_EEPKT1_PKS4_PKT3_S4_PKT4_llS7_PT5_ll16rocsparse_order_21rocsparse_index_base_b,comdat
.Lfunc_end7:
	.size	_ZN9rocsparseL29bsrmm_general_blockdim_kernelILj32ELj32Eli21rocsparse_complex_numIfES2_S2_S2_EEvb20rocsparse_direction_T2_S4_llNS_24const_host_device_scalarIT6_EEPKT1_PKS4_PKT3_S4_PKT4_llS7_PT5_ll16rocsparse_order_21rocsparse_index_base_b, .Lfunc_end7-_ZN9rocsparseL29bsrmm_general_blockdim_kernelILj32ELj32Eli21rocsparse_complex_numIfES2_S2_S2_EEvb20rocsparse_direction_T2_S4_llNS_24const_host_device_scalarIT6_EEPKT1_PKS4_PKT3_S4_PKT4_llS7_PT5_ll16rocsparse_order_21rocsparse_index_base_b
                                        ; -- End function
	.set _ZN9rocsparseL29bsrmm_general_blockdim_kernelILj32ELj32Eli21rocsparse_complex_numIfES2_S2_S2_EEvb20rocsparse_direction_T2_S4_llNS_24const_host_device_scalarIT6_EEPKT1_PKS4_PKT3_S4_PKT4_llS7_PT5_ll16rocsparse_order_21rocsparse_index_base_b.num_vgpr, 46
	.set _ZN9rocsparseL29bsrmm_general_blockdim_kernelILj32ELj32Eli21rocsparse_complex_numIfES2_S2_S2_EEvb20rocsparse_direction_T2_S4_llNS_24const_host_device_scalarIT6_EEPKT1_PKS4_PKT3_S4_PKT4_llS7_PT5_ll16rocsparse_order_21rocsparse_index_base_b.num_agpr, 0
	.set _ZN9rocsparseL29bsrmm_general_blockdim_kernelILj32ELj32Eli21rocsparse_complex_numIfES2_S2_S2_EEvb20rocsparse_direction_T2_S4_llNS_24const_host_device_scalarIT6_EEPKT1_PKS4_PKT3_S4_PKT4_llS7_PT5_ll16rocsparse_order_21rocsparse_index_base_b.numbered_sgpr, 50
	.set _ZN9rocsparseL29bsrmm_general_blockdim_kernelILj32ELj32Eli21rocsparse_complex_numIfES2_S2_S2_EEvb20rocsparse_direction_T2_S4_llNS_24const_host_device_scalarIT6_EEPKT1_PKS4_PKT3_S4_PKT4_llS7_PT5_ll16rocsparse_order_21rocsparse_index_base_b.num_named_barrier, 0
	.set _ZN9rocsparseL29bsrmm_general_blockdim_kernelILj32ELj32Eli21rocsparse_complex_numIfES2_S2_S2_EEvb20rocsparse_direction_T2_S4_llNS_24const_host_device_scalarIT6_EEPKT1_PKS4_PKT3_S4_PKT4_llS7_PT5_ll16rocsparse_order_21rocsparse_index_base_b.private_seg_size, 0
	.set _ZN9rocsparseL29bsrmm_general_blockdim_kernelILj32ELj32Eli21rocsparse_complex_numIfES2_S2_S2_EEvb20rocsparse_direction_T2_S4_llNS_24const_host_device_scalarIT6_EEPKT1_PKS4_PKT3_S4_PKT4_llS7_PT5_ll16rocsparse_order_21rocsparse_index_base_b.uses_vcc, 1
	.set _ZN9rocsparseL29bsrmm_general_blockdim_kernelILj32ELj32Eli21rocsparse_complex_numIfES2_S2_S2_EEvb20rocsparse_direction_T2_S4_llNS_24const_host_device_scalarIT6_EEPKT1_PKS4_PKT3_S4_PKT4_llS7_PT5_ll16rocsparse_order_21rocsparse_index_base_b.uses_flat_scratch, 0
	.set _ZN9rocsparseL29bsrmm_general_blockdim_kernelILj32ELj32Eli21rocsparse_complex_numIfES2_S2_S2_EEvb20rocsparse_direction_T2_S4_llNS_24const_host_device_scalarIT6_EEPKT1_PKS4_PKT3_S4_PKT4_llS7_PT5_ll16rocsparse_order_21rocsparse_index_base_b.has_dyn_sized_stack, 0
	.set _ZN9rocsparseL29bsrmm_general_blockdim_kernelILj32ELj32Eli21rocsparse_complex_numIfES2_S2_S2_EEvb20rocsparse_direction_T2_S4_llNS_24const_host_device_scalarIT6_EEPKT1_PKS4_PKT3_S4_PKT4_llS7_PT5_ll16rocsparse_order_21rocsparse_index_base_b.has_recursion, 0
	.set _ZN9rocsparseL29bsrmm_general_blockdim_kernelILj32ELj32Eli21rocsparse_complex_numIfES2_S2_S2_EEvb20rocsparse_direction_T2_S4_llNS_24const_host_device_scalarIT6_EEPKT1_PKS4_PKT3_S4_PKT4_llS7_PT5_ll16rocsparse_order_21rocsparse_index_base_b.has_indirect_call, 0
	.section	.AMDGPU.csdata,"",@progbits
; Kernel info:
; codeLenInByte = 2696
; TotalNumSgprs: 54
; NumVgprs: 46
; ScratchSize: 0
; MemoryBound: 0
; FloatMode: 240
; IeeeMode: 1
; LDSByteSize: 16384 bytes/workgroup (compile time only)
; SGPRBlocks: 8
; VGPRBlocks: 11
; NumSGPRsForWavesPerEU: 65
; NumVGPRsForWavesPerEU: 46
; Occupancy: 5
; WaveLimiterHint : 0
; COMPUTE_PGM_RSRC2:SCRATCH_EN: 0
; COMPUTE_PGM_RSRC2:USER_SGPR: 6
; COMPUTE_PGM_RSRC2:TRAP_HANDLER: 0
; COMPUTE_PGM_RSRC2:TGID_X_EN: 1
; COMPUTE_PGM_RSRC2:TGID_Y_EN: 1
; COMPUTE_PGM_RSRC2:TGID_Z_EN: 0
; COMPUTE_PGM_RSRC2:TIDIG_COMP_CNT: 1
	.section	.text._ZN9rocsparseL29bsrmm_general_blockdim_kernelILj32ELj32Ell21rocsparse_complex_numIfES2_S2_S2_EEvb20rocsparse_direction_T2_S4_llNS_24const_host_device_scalarIT6_EEPKT1_PKS4_PKT3_S4_PKT4_llS7_PT5_ll16rocsparse_order_21rocsparse_index_base_b,"axG",@progbits,_ZN9rocsparseL29bsrmm_general_blockdim_kernelILj32ELj32Ell21rocsparse_complex_numIfES2_S2_S2_EEvb20rocsparse_direction_T2_S4_llNS_24const_host_device_scalarIT6_EEPKT1_PKS4_PKT3_S4_PKT4_llS7_PT5_ll16rocsparse_order_21rocsparse_index_base_b,comdat
	.globl	_ZN9rocsparseL29bsrmm_general_blockdim_kernelILj32ELj32Ell21rocsparse_complex_numIfES2_S2_S2_EEvb20rocsparse_direction_T2_S4_llNS_24const_host_device_scalarIT6_EEPKT1_PKS4_PKT3_S4_PKT4_llS7_PT5_ll16rocsparse_order_21rocsparse_index_base_b ; -- Begin function _ZN9rocsparseL29bsrmm_general_blockdim_kernelILj32ELj32Ell21rocsparse_complex_numIfES2_S2_S2_EEvb20rocsparse_direction_T2_S4_llNS_24const_host_device_scalarIT6_EEPKT1_PKS4_PKT3_S4_PKT4_llS7_PT5_ll16rocsparse_order_21rocsparse_index_base_b
	.p2align	8
	.type	_ZN9rocsparseL29bsrmm_general_blockdim_kernelILj32ELj32Ell21rocsparse_complex_numIfES2_S2_S2_EEvb20rocsparse_direction_T2_S4_llNS_24const_host_device_scalarIT6_EEPKT1_PKS4_PKT3_S4_PKT4_llS7_PT5_ll16rocsparse_order_21rocsparse_index_base_b,@function
_ZN9rocsparseL29bsrmm_general_blockdim_kernelILj32ELj32Ell21rocsparse_complex_numIfES2_S2_S2_EEvb20rocsparse_direction_T2_S4_llNS_24const_host_device_scalarIT6_EEPKT1_PKS4_PKT3_S4_PKT4_llS7_PT5_ll16rocsparse_order_21rocsparse_index_base_b: ; @_ZN9rocsparseL29bsrmm_general_blockdim_kernelILj32ELj32Ell21rocsparse_complex_numIfES2_S2_S2_EEvb20rocsparse_direction_T2_S4_llNS_24const_host_device_scalarIT6_EEPKT1_PKS4_PKT3_S4_PKT4_llS7_PT5_ll16rocsparse_order_21rocsparse_index_base_b
; %bb.0:
	s_load_dwordx2 s[2:3], s[4:5], 0x28
	s_load_dwordx4 s[20:23], s[4:5], 0x88
	s_add_u32 s1, s4, 40
	s_mov_b32 s0, s7
	s_addc_u32 s7, s5, 0
	s_add_u32 s10, s4, 0x68
	s_load_dwordx2 s[8:9], s[4:5], 0x68
	s_addc_u32 s11, s5, 0
	s_waitcnt lgkmcnt(0)
	s_bitcmp1_b32 s22, 0
	s_cselect_b32 s3, s7, s3
	s_cselect_b32 s1, s1, s2
	v_mov_b32_e32 v2, s1
	v_mov_b32_e32 v3, s3
	flat_load_dwordx2 v[2:3], v[2:3]
	s_cselect_b32 s1, s11, s9
	s_cselect_b32 s2, s10, s8
	v_mov_b32_e32 v4, s2
	v_mov_b32_e32 v5, s1
	flat_load_dwordx2 v[4:5], v[4:5]
	s_waitcnt vmcnt(0) lgkmcnt(0)
	v_cmp_eq_f32_e32 vcc, 0, v2
	v_cmp_eq_f32_e64 s[2:3], 0, v3
	s_and_b64 s[10:11], vcc, s[2:3]
	s_mov_b64 s[2:3], -1
	s_and_saveexec_b64 s[8:9], s[10:11]
; %bb.1:
	v_cmp_neq_f32_e32 vcc, 1.0, v4
	v_cmp_neq_f32_e64 s[2:3], 0, v5
	s_or_b64 s[2:3], vcc, s[2:3]
	s_orn2_b64 s[2:3], s[2:3], exec
; %bb.2:
	s_or_b64 exec, exec, s[8:9]
	s_and_saveexec_b64 s[8:9], s[2:3]
	s_cbranch_execz .LBB8_50
; %bb.3:
	s_load_dwordx4 s[24:27], s[4:5], 0x8
	s_load_dwordx2 s[8:9], s[4:5], 0x30
	s_ashr_i32 s7, s6, 31
	v_mov_b32_e32 v6, s6
	v_mov_b32_e32 v7, s7
	s_waitcnt lgkmcnt(0)
	v_cmp_le_i64_e32 vcc, s[24:25], v[6:7]
	v_cmp_gt_i64_e64 s[2:3], s[24:25], v[6:7]
	s_mov_b64 s[22:23], 0
	s_mov_b64 s[24:25], 0
	s_cbranch_vccz .LBB8_6
; %bb.4:
	s_andn2_b64 vcc, exec, s[2:3]
	s_cbranch_vccz .LBB8_7
.LBB8_5:
	s_load_dwordx2 s[28:29], s[4:5], 0x48
	s_waitcnt lgkmcnt(0)
	v_cmp_lt_i64_e64 s[8:9], s[28:29], 1
	s_and_b64 vcc, exec, s[8:9]
	s_cbranch_vccz .LBB8_8
	s_branch .LBB8_50
.LBB8_6:
	s_lshl_b64 s[10:11], s[6:7], 3
	s_add_u32 s10, s8, s10
	s_addc_u32 s11, s9, s11
	s_load_dwordx2 s[10:11], s[10:11], 0x0
	s_waitcnt lgkmcnt(0)
	s_sub_u32 s24, s10, s21
	s_subb_u32 s25, s11, 0
	s_andn2_b64 vcc, exec, s[2:3]
	s_cbranch_vccnz .LBB8_5
.LBB8_7:
	s_lshl_b64 s[10:11], s[6:7], 3
	s_add_u32 s8, s8, s10
	s_addc_u32 s9, s9, s11
	s_load_dwordx2 s[8:9], s[8:9], 0x8
	s_waitcnt lgkmcnt(0)
	s_sub_u32 s22, s8, s21
	s_subb_u32 s23, s9, 0
	s_load_dwordx2 s[28:29], s[4:5], 0x48
	s_waitcnt lgkmcnt(0)
	v_cmp_lt_i64_e64 s[8:9], s[28:29], 1
	s_and_b64 vcc, exec, s[8:9]
	s_cbranch_vccnz .LBB8_50
.LBB8_8:
	s_load_dwordx4 s[8:11], s[4:5], 0x70
	s_load_dwordx4 s[12:15], s[4:5], 0x50
	;; [unrolled: 1-line block ×3, first 2 shown]
	s_load_dwordx2 s[36:37], s[4:5], 0x0
	v_lshl_add_u32 v6, s0, 5, v1
	v_mov_b32_e32 v7, 0
	v_lshlrev_b64 v[8:9], 3, v[6:7]
	s_waitcnt lgkmcnt(0)
	v_mov_b32_e32 v10, s9
	s_bitcmp1_b32 s36, 0
	s_cselect_b64 s[0:1], -1, 0
	s_xor_b64 s[30:31], s[0:1], -1
	s_mul_i32 s0, s29, s6
	s_mul_hi_u32 s1, s28, s6
	s_add_i32 s33, s1, s0
	s_mul_i32 s0, s28, s29
	s_mul_hi_u32 s1, s28, s28
	v_add_co_u32_e32 v22, vcc, s8, v8
	s_add_i32 s1, s1, s0
	v_addc_co_u32_e32 v23, vcc, v10, v9, vcc
	s_add_i32 s35, s1, s0
	v_cmp_gt_i64_e64 s[0:1], s[26:27], v[6:7]
	v_mov_b32_e32 v12, s13
	v_add_co_u32_e32 v24, vcc, s12, v8
	s_cmp_lg_u32 s37, 0
	v_addc_co_u32_e32 v25, vcc, v12, v9, vcc
	s_cselect_b64 s[26:27], -1, 0
	s_and_b64 s[36:37], s[2:3], s[0:1]
	v_mad_u64_u32 v[8:9], s[2:3], s10, v6, 0
	v_mov_b32_e32 v10, s22
	v_cmp_neq_f32_e32 vcc, 0, v4
	v_cmp_neq_f32_e64 s[2:3], 0, v5
	s_or_b64 s[38:39], vcc, s[2:3]
	v_mad_u64_u32 v[12:13], s[2:3], s11, v6, v[9:10]
	v_mad_u64_u32 v[13:14], s[2:3], s14, v6, 0
	v_mov_b32_e32 v9, v12
	v_lshlrev_b64 v[8:9], 3, v[8:9]
	v_mov_b32_e32 v12, v14
	v_mad_u64_u32 v[14:15], s[2:3], s15, v6, v[12:13]
	v_mov_b32_e32 v17, s9
	v_add_co_u32_e32 v28, vcc, s8, v8
	s_cmp_lg_u32 s20, 1
	v_addc_co_u32_e32 v29, vcc, v17, v9, vcc
	v_lshlrev_b64 v[8:9], 3, v[13:14]
	s_mul_i32 s2, s24, s29
	s_mul_hi_u32 s3, s24, s28
	s_mov_b32 s55, s21
	v_lshlrev_b32_e32 v26, 3, v0
	s_cselect_b64 s[20:21], -1, 0
	s_add_i32 s2, s3, s2
	s_mul_i32 s3, s25, s28
	v_add_co_u32_e32 v12, vcc, v8, v26
	s_add_i32 s3, s2, s3
	s_mul_i32 s2, s24, s28
	v_addc_co_u32_e32 v13, vcc, 0, v9, vcc
	s_lshl_b64 s[2:3], s[2:3], 3
	v_mov_b32_e32 v6, s3
	v_add_co_u32_e32 v8, vcc, s2, v26
	v_addc_co_u32_e32 v9, vcc, 0, v6, vcc
	v_lshlrev_b32_e32 v6, 3, v1
	v_mul_lo_u32 v15, s28, v9
	v_mul_lo_u32 v17, s29, v8
	v_mad_u64_u32 v[8:9], s[2:3], s28, v8, v[6:7]
	v_mov_b32_e32 v14, s13
	v_add_co_u32_e32 v6, vcc, s12, v12
	v_addc_co_u32_e32 v7, vcc, v14, v13, vcc
	v_add3_u32 v9, v17, v9, v15
	v_mov_b32_e32 v30, s19
	v_add_co_u32_e32 v8, vcc, s18, v8
	v_mov_b32_e32 v11, s23
	v_addc_co_u32_e32 v9, vcc, v30, v9, vcc
	v_cmp_lt_i64_e32 vcc, s[24:25], v[10:11]
	s_mul_i32 s34, s28, s28
	v_or_b32_e32 v16, 0x2000, v26
	v_lshlrev_b32_e32 v27, 8, v1
	v_cndmask_b32_e64 v10, 0, 1, vcc
	s_mul_i32 s54, s28, s6
	s_lshl_b64 s[8:9], s[28:29], 3
	s_lshl_b64 s[12:13], s[28:29], 8
	;; [unrolled: 1-line block ×3, first 2 shown]
	s_mov_b64 s[42:43], 0
	v_add_u32_e32 v31, v16, v27
	v_cmp_ne_u32_e64 s[2:3], 1, v10
	s_branch .LBB8_10
.LBB8_9:                                ;   in Loop: Header=BB8_10 Depth=1
	s_or_b64 exec, exec, s[4:5]
	s_add_u32 s42, s42, 32
	v_mov_b32_e32 v10, s28
	s_addc_u32 s43, s43, 0
	v_mov_b32_e32 v11, s29
	v_cmp_lt_i64_e32 vcc, s[42:43], v[10:11]
	v_mov_b32_e32 v12, s13
	v_add_co_u32_e64 v8, s[4:5], s12, v8
	v_addc_co_u32_e64 v9, s[4:5], v9, v12, s[4:5]
	s_cbranch_vccz .LBB8_50
.LBB8_10:                               ; =>This Loop Header: Depth=1
                                        ;     Child Loop BB8_13 Depth 2
                                        ;       Child Loop BB8_15 Depth 3
	v_mov_b32_e32 v11, s43
	v_add_co_u32_e32 v10, vcc, s42, v0
	v_addc_co_u32_e32 v11, vcc, 0, v11, vcc
	v_cmp_gt_i64_e64 s[4:5], s[28:29], v[10:11]
	s_and_b64 vcc, exec, s[2:3]
	v_mov_b32_e32 v32, 0
	v_mov_b32_e32 v37, 0
	s_cbranch_vccnz .LBB8_39
; %bb.11:                               ;   in Loop: Header=BB8_10 Depth=1
	v_lshlrev_b64 v[12:13], 3, v[10:11]
	v_mov_b32_e32 v32, 0
	v_add_co_u32_e32 v33, vcc, s18, v12
	v_addc_co_u32_e32 v34, vcc, v30, v13, vcc
	v_mov_b32_e32 v13, v9
	v_mov_b32_e32 v12, v8
	s_mov_b64 s[44:45], s[24:25]
	v_mov_b32_e32 v37, 0
	s_branch .LBB8_13
.LBB8_12:                               ;   in Loop: Header=BB8_13 Depth=2
	s_add_u32 s44, s44, 1
	v_mov_b32_e32 v14, s22
	s_addc_u32 s45, s45, 0
	v_mov_b32_e32 v15, s23
	v_cmp_ge_i64_e32 vcc, s[44:45], v[14:15]
	v_mov_b32_e32 v16, s41
	v_add_co_u32_e64 v12, s[6:7], s40, v12
	v_addc_co_u32_e64 v13, s[6:7], v13, v16, s[6:7]
	s_cbranch_vccnz .LBB8_39
.LBB8_13:                               ;   Parent Loop BB8_10 Depth=1
                                        ; =>  This Loop Header: Depth=2
                                        ;       Child Loop BB8_15 Depth 3
	s_mul_i32 s6, s34, s45
	s_mul_hi_u32 s7, s34, s44
	s_add_i32 s6, s7, s6
	s_mul_i32 s7, s35, s44
	s_add_i32 s7, s6, s7
	s_lshl_b64 s[46:47], s[44:45], 3
	s_add_u32 s46, s16, s46
	s_addc_u32 s47, s17, s47
	s_load_dwordx2 s[46:47], s[46:47], 0x0
	s_mul_i32 s6, s34, s44
	v_mov_b32_e32 v17, v13
	v_mov_b32_e32 v16, v12
	s_waitcnt lgkmcnt(0)
	s_sub_u32 s46, s46, s55
	s_subb_u32 s47, s47, 0
	s_lshl_b64 s[6:7], s[6:7], 3
	v_mov_b32_e32 v14, s7
	v_add_co_u32_e32 v35, vcc, s6, v33
	v_addc_co_u32_e32 v36, vcc, v34, v14, vcc
	v_mov_b32_e32 v14, s46
	v_mad_u64_u32 v[14:15], s[6:7], s8, v14, v[6:7]
	s_mul_i32 s19, s46, s29
	s_mul_hi_u32 s48, s46, s28
	s_mul_i32 s6, s9, s46
	s_mul_i32 s7, s8, s47
	s_add_i32 s19, s48, s19
	s_mul_i32 s48, s47, s28
	s_add_i32 s7, s7, s6
	s_add_i32 s19, s19, s48
	s_mul_i32 s56, s46, s28
	v_add_u32_e32 v15, s7, v15
	s_mov_b64 s[46:47], 0
	s_branch .LBB8_15
.LBB8_14:                               ;   in Loop: Header=BB8_15 Depth=3
	s_or_b64 exec, exec, s[6:7]
	v_add_u32_e32 v18, v26, v27
	s_waitcnt vmcnt(0)
	ds_write_b64 v18, v[20:21]
	s_waitcnt lgkmcnt(0)
	s_barrier
	ds_read2_b64 v[18:21], v26 offset1:32
	ds_read_b128 v[38:41], v27 offset:8192
	ds_read_b128 v[42:45], v27 offset:8208
	;; [unrolled: 1-line block ×4, first 2 shown]
	ds_read2_b64 v[54:57], v26 offset0:64 offset1:96
	s_waitcnt lgkmcnt(4)
	v_fmac_f32_e32 v37, v18, v38
	v_fma_f32 v37, -v19, v39, v37
	v_fmac_f32_e32 v32, v19, v38
	v_fmac_f32_e32 v37, v20, v40
	;; [unrolled: 1-line block ×3, first 2 shown]
	v_fma_f32 v18, -v21, v41, v37
	v_fmac_f32_e32 v32, v21, v40
	s_waitcnt lgkmcnt(0)
	v_fmac_f32_e32 v18, v54, v42
	v_fmac_f32_e32 v32, v20, v41
	v_fma_f32 v37, -v55, v43, v18
	ds_read2_b64 v[18:21], v26 offset0:128 offset1:160
	v_fmac_f32_e32 v37, v56, v44
	v_fmac_f32_e32 v32, v55, v42
	v_fma_f32 v37, -v57, v45, v37
	v_fmac_f32_e32 v32, v54, v43
	s_waitcnt lgkmcnt(0)
	v_fmac_f32_e32 v37, v18, v46
	v_fmac_f32_e32 v32, v57, v44
	v_fma_f32 v41, -v19, v47, v37
	ds_read2_b64 v[37:40], v26 offset0:192 offset1:224
	v_fmac_f32_e32 v32, v56, v45
	v_fmac_f32_e32 v32, v19, v46
	;; [unrolled: 1-line block ×4, first 2 shown]
	v_fma_f32 v18, -v21, v49, v41
	v_fmac_f32_e32 v32, v21, v48
	v_fmac_f32_e32 v32, v20, v49
	s_waitcnt lgkmcnt(0)
	v_fmac_f32_e32 v18, v37, v50
	v_add_u32_e32 v49, 0x800, v26
	v_fma_f32 v45, -v38, v51, v18
	ds_read2_b64 v[18:21], v49 offset1:32
	ds_read_b128 v[41:44], v27 offset:8256
	v_fmac_f32_e32 v32, v38, v50
	v_fmac_f32_e32 v45, v39, v52
	;; [unrolled: 1-line block ×3, first 2 shown]
	v_fma_f32 v45, -v40, v53, v45
	v_fmac_f32_e32 v32, v40, v52
	s_waitcnt lgkmcnt(0)
	v_fmac_f32_e32 v45, v18, v41
	v_fmac_f32_e32 v32, v39, v53
	ds_read_b128 v[37:40], v27 offset:8272
	v_fma_f32 v50, -v19, v42, v45
	ds_read2_b64 v[45:48], v49 offset0:64 offset1:96
	v_fmac_f32_e32 v32, v19, v41
	v_fmac_f32_e32 v50, v20, v43
	;; [unrolled: 1-line block ×3, first 2 shown]
	v_fma_f32 v18, -v21, v44, v50
	v_fmac_f32_e32 v32, v21, v43
	s_waitcnt lgkmcnt(0)
	v_fmac_f32_e32 v18, v45, v37
	v_fmac_f32_e32 v32, v20, v44
	v_fma_f32 v50, -v46, v38, v18
	ds_read2_b64 v[18:21], v49 offset0:128 offset1:160
	ds_read_b128 v[41:44], v27 offset:8288
	v_fmac_f32_e32 v32, v46, v37
	v_fmac_f32_e32 v50, v47, v39
	;; [unrolled: 1-line block ×3, first 2 shown]
	v_fma_f32 v45, -v48, v40, v50
	v_fmac_f32_e32 v32, v48, v39
	s_waitcnt lgkmcnt(0)
	v_fmac_f32_e32 v45, v18, v41
	v_fmac_f32_e32 v32, v47, v40
	ds_read_b128 v[37:40], v27 offset:8304
	v_fma_f32 v50, -v19, v42, v45
	ds_read2_b64 v[45:48], v49 offset0:192 offset1:224
	v_fmac_f32_e32 v32, v19, v41
	v_fmac_f32_e32 v50, v20, v43
	v_fmac_f32_e32 v32, v18, v42
	v_fma_f32 v18, -v21, v44, v50
	v_fmac_f32_e32 v32, v21, v43
	s_waitcnt lgkmcnt(0)
	v_fmac_f32_e32 v18, v45, v37
	v_add_u32_e32 v50, 0x1000, v26
	v_fmac_f32_e32 v32, v20, v44
	v_fma_f32 v49, -v46, v38, v18
	ds_read2_b64 v[18:21], v50 offset1:32
	ds_read_b128 v[41:44], v27 offset:8320
	v_fmac_f32_e32 v32, v46, v37
	v_fmac_f32_e32 v49, v47, v39
	;; [unrolled: 1-line block ×3, first 2 shown]
	v_fma_f32 v45, -v48, v40, v49
	v_fmac_f32_e32 v32, v48, v39
	s_waitcnt lgkmcnt(0)
	v_fmac_f32_e32 v45, v18, v41
	v_fmac_f32_e32 v32, v47, v40
	ds_read_b128 v[37:40], v27 offset:8336
	v_fma_f32 v49, -v19, v42, v45
	ds_read2_b64 v[45:48], v50 offset0:64 offset1:96
	v_fmac_f32_e32 v32, v19, v41
	v_fmac_f32_e32 v49, v20, v43
	;; [unrolled: 1-line block ×3, first 2 shown]
	v_fma_f32 v18, -v21, v44, v49
	v_fmac_f32_e32 v32, v21, v43
	s_waitcnt lgkmcnt(0)
	v_fmac_f32_e32 v18, v45, v37
	v_fmac_f32_e32 v32, v20, v44
	v_fma_f32 v49, -v46, v38, v18
	ds_read2_b64 v[18:21], v50 offset0:128 offset1:160
	ds_read_b128 v[41:44], v27 offset:8352
	v_fmac_f32_e32 v32, v46, v37
	v_fmac_f32_e32 v49, v47, v39
	;; [unrolled: 1-line block ×3, first 2 shown]
	v_fma_f32 v45, -v48, v40, v49
	v_fmac_f32_e32 v32, v48, v39
	s_waitcnt lgkmcnt(0)
	v_fmac_f32_e32 v45, v18, v41
	v_fmac_f32_e32 v32, v47, v40
	ds_read_b128 v[37:40], v27 offset:8368
	v_fma_f32 v49, -v19, v42, v45
	ds_read2_b64 v[45:48], v50 offset0:192 offset1:224
	v_fmac_f32_e32 v32, v19, v41
	v_fmac_f32_e32 v49, v20, v43
	;; [unrolled: 1-line block ×3, first 2 shown]
	v_fma_f32 v18, -v21, v44, v49
	v_fmac_f32_e32 v32, v21, v43
	s_waitcnt lgkmcnt(0)
	v_fmac_f32_e32 v18, v45, v37
	v_add_u32_e32 v50, 0x1800, v26
	v_fmac_f32_e32 v32, v20, v44
	v_fma_f32 v49, -v46, v38, v18
	ds_read2_b64 v[18:21], v50 offset1:32
	ds_read_b128 v[41:44], v27 offset:8384
	v_fmac_f32_e32 v32, v46, v37
	v_fmac_f32_e32 v49, v47, v39
	;; [unrolled: 1-line block ×3, first 2 shown]
	v_fma_f32 v45, -v48, v40, v49
	v_fmac_f32_e32 v32, v48, v39
	s_waitcnt lgkmcnt(0)
	v_fmac_f32_e32 v45, v18, v41
	v_fmac_f32_e32 v32, v47, v40
	ds_read_b128 v[37:40], v27 offset:8400
	v_fma_f32 v49, -v19, v42, v45
	ds_read2_b64 v[45:48], v50 offset0:64 offset1:96
	v_fmac_f32_e32 v32, v19, v41
	v_fmac_f32_e32 v49, v20, v43
	;; [unrolled: 1-line block ×3, first 2 shown]
	v_fma_f32 v18, -v21, v44, v49
	v_fmac_f32_e32 v32, v21, v43
	s_waitcnt lgkmcnt(0)
	v_fmac_f32_e32 v18, v45, v37
	v_fmac_f32_e32 v32, v20, v44
	v_fma_f32 v49, -v46, v38, v18
	ds_read2_b64 v[18:21], v50 offset0:128 offset1:160
	ds_read_b128 v[41:44], v27 offset:8416
	v_fmac_f32_e32 v32, v46, v37
	v_fmac_f32_e32 v49, v47, v39
	;; [unrolled: 1-line block ×3, first 2 shown]
	v_fma_f32 v45, -v48, v40, v49
	v_fmac_f32_e32 v32, v48, v39
	s_waitcnt lgkmcnt(0)
	v_fmac_f32_e32 v45, v18, v41
	v_fmac_f32_e32 v32, v47, v40
	ds_read_b128 v[37:40], v27 offset:8432
	v_fma_f32 v49, -v19, v42, v45
	ds_read2_b64 v[45:48], v50 offset0:192 offset1:224
	v_fmac_f32_e32 v32, v19, v41
	v_fmac_f32_e32 v49, v20, v43
	;; [unrolled: 1-line block ×3, first 2 shown]
	v_fma_f32 v18, -v21, v44, v49
	s_waitcnt lgkmcnt(0)
	v_fmac_f32_e32 v18, v45, v37
	v_fmac_f32_e32 v32, v21, v43
	v_fma_f32 v18, -v46, v38, v18
	v_fmac_f32_e32 v32, v20, v44
	v_fmac_f32_e32 v18, v47, v39
	v_fmac_f32_e32 v32, v46, v37
	v_fma_f32 v37, -v48, v40, v18
	s_add_u32 s46, s46, 32
	v_add_co_u32_e32 v14, vcc, 0x100, v14
	v_mov_b32_e32 v18, s28
	s_addc_u32 s47, s47, 0
	v_addc_co_u32_e32 v15, vcc, 0, v15, vcc
	v_mov_b32_e32 v19, s29
	v_fmac_f32_e32 v32, v45, v38
	v_add_co_u32_e32 v16, vcc, 0x100, v16
	v_cmp_ge_i64_e64 s[6:7], s[46:47], v[18:19]
	v_fmac_f32_e32 v32, v48, v39
	v_addc_co_u32_e32 v17, vcc, 0, v17, vcc
	v_fmac_f32_e32 v32, v47, v40
	s_and_b64 vcc, exec, s[6:7]
	s_barrier
	s_cbranch_vccnz .LBB8_12
.LBB8_15:                               ;   Parent Loop BB8_10 Depth=1
                                        ;     Parent Loop BB8_13 Depth=2
                                        ; =>    This Inner Loop Header: Depth=3
	s_mov_b64 s[6:7], -1
	s_and_b64 vcc, exec, s[30:31]
	s_mov_b64 s[48:49], 0
                                        ; implicit-def: $vgpr18_vgpr19
	s_cbranch_vccnz .LBB8_25
; %bb.16:                               ;   in Loop: Header=BB8_15 Depth=3
	s_and_b64 vcc, exec, s[6:7]
	s_cbranch_vccnz .LBB8_30
.LBB8_17:                               ;   in Loop: Header=BB8_15 Depth=3
	v_mov_b32_e32 v20, 0
	v_mov_b32_e32 v21, 0
	s_and_saveexec_b64 s[6:7], s[48:49]
	s_cbranch_execnz .LBB8_33
.LBB8_18:                               ;   in Loop: Header=BB8_15 Depth=3
	s_or_b64 exec, exec, s[6:7]
	s_and_b64 vcc, exec, s[26:27]
	ds_write_b64 v31, v[20:21]
	s_cbranch_vccz .LBB8_34
.LBB8_19:                               ;   in Loop: Header=BB8_15 Depth=3
	s_mov_b64 s[6:7], 0
	s_mov_b64 s[48:49], 0
                                        ; implicit-def: $vgpr18_vgpr19
	s_and_saveexec_b64 s[50:51], s[4:5]
	s_cbranch_execz .LBB8_23
; %bb.20:                               ;   in Loop: Header=BB8_15 Depth=3
	v_mov_b32_e32 v18, s47
	v_add_co_u32_e32 v20, vcc, s46, v1
	v_addc_co_u32_e32 v21, vcc, 0, v18, vcc
	v_cmp_gt_i64_e32 vcc, s[28:29], v[20:21]
                                        ; implicit-def: $vgpr18_vgpr19
	s_and_saveexec_b64 s[52:53], vcc
	s_xor_b64 s[52:53], exec, s[52:53]
	s_cbranch_execz .LBB8_22
; %bb.21:                               ;   in Loop: Header=BB8_15 Depth=3
	v_mul_lo_u32 v21, v21, s28
	v_mul_lo_u32 v38, v20, s29
	v_mad_u64_u32 v[18:19], s[58:59], v20, s28, 0
	s_mov_b64 s[48:49], exec
	v_add3_u32 v19, v19, v38, v21
	v_lshlrev_b64 v[18:19], 3, v[18:19]
	v_add_co_u32_e32 v18, vcc, v35, v18
	v_addc_co_u32_e32 v19, vcc, v36, v19, vcc
.LBB8_22:                               ;   in Loop: Header=BB8_15 Depth=3
	s_or_b64 exec, exec, s[52:53]
	s_and_b64 s[48:49], s[48:49], exec
.LBB8_23:                               ;   in Loop: Header=BB8_15 Depth=3
	s_or_b64 exec, exec, s[50:51]
	s_and_b64 vcc, exec, s[6:7]
	s_cbranch_vccnz .LBB8_35
.LBB8_24:                               ;   in Loop: Header=BB8_15 Depth=3
	v_mov_b32_e32 v20, 0
	v_mov_b32_e32 v21, 0
	s_and_saveexec_b64 s[6:7], s[48:49]
	s_cbranch_execz .LBB8_14
	s_branch .LBB8_38
.LBB8_25:                               ;   in Loop: Header=BB8_15 Depth=3
	s_mov_b64 s[6:7], 0
                                        ; implicit-def: $vgpr18_vgpr19
	s_and_saveexec_b64 s[50:51], s[0:1]
	s_cbranch_execz .LBB8_29
; %bb.26:                               ;   in Loop: Header=BB8_15 Depth=3
	v_mov_b32_e32 v18, s47
	v_add_co_u32_e32 v20, vcc, s46, v0
	v_addc_co_u32_e32 v21, vcc, 0, v18, vcc
	v_cmp_gt_i64_e32 vcc, s[28:29], v[20:21]
                                        ; implicit-def: $vgpr18_vgpr19
	s_and_saveexec_b64 s[52:53], vcc
	s_xor_b64 s[52:53], exec, s[52:53]
	s_cbranch_execz .LBB8_28
; %bb.27:                               ;   in Loop: Header=BB8_15 Depth=3
	v_mov_b32_e32 v18, s19
	v_add_co_u32_e32 v19, vcc, s56, v20
	v_addc_co_u32_e32 v18, vcc, v21, v18, vcc
	v_mul_lo_u32 v20, v18, s14
	v_mul_lo_u32 v21, v19, s15
	v_mad_u64_u32 v[18:19], s[58:59], v19, s14, 0
	s_mov_b64 s[48:49], exec
	v_add3_u32 v19, v19, v21, v20
	v_lshlrev_b64 v[18:19], 3, v[18:19]
	v_add_co_u32_e32 v18, vcc, v24, v18
	v_addc_co_u32_e32 v19, vcc, v25, v19, vcc
.LBB8_28:                               ;   in Loop: Header=BB8_15 Depth=3
	s_or_b64 exec, exec, s[52:53]
	s_and_b64 s[48:49], s[48:49], exec
.LBB8_29:                               ;   in Loop: Header=BB8_15 Depth=3
	s_or_b64 exec, exec, s[50:51]
	s_and_b64 vcc, exec, s[6:7]
	s_cbranch_vccz .LBB8_17
.LBB8_30:                               ;   in Loop: Header=BB8_15 Depth=3
	s_and_saveexec_b64 s[6:7], s[0:1]
; %bb.31:                               ;   in Loop: Header=BB8_15 Depth=3
	v_mov_b32_e32 v19, s47
	v_add_co_u32_e32 v18, vcc, s46, v0
	v_addc_co_u32_e32 v19, vcc, 0, v19, vcc
	v_cmp_gt_i64_e32 vcc, s[28:29], v[18:19]
	s_andn2_b64 s[48:49], s[48:49], exec
	s_and_b64 s[50:51], vcc, exec
	s_or_b64 s[48:49], s[48:49], s[50:51]
; %bb.32:                               ;   in Loop: Header=BB8_15 Depth=3
	s_or_b64 exec, exec, s[6:7]
	v_mov_b32_e32 v19, v15
	v_mov_b32_e32 v18, v14
	;; [unrolled: 1-line block ×4, first 2 shown]
	s_and_saveexec_b64 s[6:7], s[48:49]
	s_cbranch_execz .LBB8_18
.LBB8_33:                               ;   in Loop: Header=BB8_15 Depth=3
	global_load_dwordx2 v[20:21], v[18:19], off
	s_or_b64 exec, exec, s[6:7]
	s_and_b64 vcc, exec, s[26:27]
	s_waitcnt vmcnt(0)
	ds_write_b64 v31, v[20:21]
	s_cbranch_vccnz .LBB8_19
.LBB8_34:                               ;   in Loop: Header=BB8_15 Depth=3
	s_mov_b64 s[48:49], 0
                                        ; implicit-def: $vgpr18_vgpr19
	s_cbranch_execz .LBB8_24
.LBB8_35:                               ;   in Loop: Header=BB8_15 Depth=3
	s_and_saveexec_b64 s[6:7], s[4:5]
; %bb.36:                               ;   in Loop: Header=BB8_15 Depth=3
	v_mov_b32_e32 v19, s47
	v_add_co_u32_e32 v18, vcc, s46, v1
	v_addc_co_u32_e32 v19, vcc, 0, v19, vcc
	v_cmp_gt_i64_e32 vcc, s[28:29], v[18:19]
	s_andn2_b64 s[48:49], s[48:49], exec
	s_and_b64 s[50:51], vcc, exec
	s_or_b64 s[48:49], s[48:49], s[50:51]
; %bb.37:                               ;   in Loop: Header=BB8_15 Depth=3
	s_or_b64 exec, exec, s[6:7]
	v_mov_b32_e32 v19, v17
	v_mov_b32_e32 v18, v16
	;; [unrolled: 1-line block ×4, first 2 shown]
	s_and_saveexec_b64 s[6:7], s[48:49]
	s_cbranch_execz .LBB8_14
.LBB8_38:                               ;   in Loop: Header=BB8_15 Depth=3
	global_load_dwordx2 v[20:21], v[18:19], off
	s_branch .LBB8_14
.LBB8_39:                               ;   in Loop: Header=BB8_10 Depth=1
	v_cmp_gt_i64_e32 vcc, s[28:29], v[10:11]
	s_and_b64 s[6:7], s[36:37], vcc
	s_and_saveexec_b64 s[4:5], s[6:7]
	s_cbranch_execz .LBB8_9
; %bb.40:                               ;   in Loop: Header=BB8_10 Depth=1
	v_mov_b32_e32 v12, s33
	v_add_co_u32_e32 v10, vcc, s54, v10
	v_addc_co_u32_e32 v11, vcc, v11, v12, vcc
	s_and_saveexec_b64 s[6:7], s[38:39]
	s_xor_b64 s[6:7], exec, s[6:7]
	s_cbranch_execz .LBB8_45
; %bb.41:                               ;   in Loop: Header=BB8_10 Depth=1
	s_mov_b64 s[44:45], -1
	s_and_b64 vcc, exec, s[20:21]
	s_cbranch_vccz .LBB8_43
; %bb.42:                               ;   in Loop: Header=BB8_10 Depth=1
	v_mul_lo_u32 v14, v11, s10
	v_mul_lo_u32 v15, v10, s11
	v_mad_u64_u32 v[12:13], s[44:45], v10, s10, 0
	v_mul_f32_e64 v16, v32, -v3
	v_mul_f32_e32 v17, v2, v32
	v_add3_u32 v13, v13, v15, v14
	v_lshlrev_b64 v[12:13], 3, v[12:13]
	v_fmac_f32_e32 v16, v2, v37
	v_add_co_u32_e32 v12, vcc, v22, v12
	v_addc_co_u32_e32 v13, vcc, v23, v13, vcc
	global_load_dwordx2 v[14:15], v[12:13], off
	v_fmac_f32_e32 v17, v3, v37
	s_mov_b64 s[44:45], 0
	s_waitcnt vmcnt(0)
	v_fmac_f32_e32 v16, v4, v14
	v_fmac_f32_e32 v17, v5, v14
	v_fma_f32 v16, -v5, v15, v16
	v_fmac_f32_e32 v17, v4, v15
	global_store_dwordx2 v[12:13], v[16:17], off
.LBB8_43:                               ;   in Loop: Header=BB8_10 Depth=1
	s_andn2_b64 vcc, exec, s[44:45]
	s_cbranch_vccnz .LBB8_45
; %bb.44:                               ;   in Loop: Header=BB8_10 Depth=1
	v_lshlrev_b64 v[10:11], 3, v[10:11]
	v_mul_f32_e64 v14, v32, -v3
	v_add_co_u32_e32 v10, vcc, v28, v10
	v_addc_co_u32_e32 v11, vcc, v29, v11, vcc
	global_load_dwordx2 v[12:13], v[10:11], off
	v_mul_f32_e32 v15, v2, v32
	v_fmac_f32_e32 v14, v2, v37
	v_fmac_f32_e32 v15, v3, v37
                                        ; implicit-def: $vgpr32
                                        ; implicit-def: $vgpr37
	s_waitcnt vmcnt(0)
	v_fmac_f32_e32 v14, v4, v12
	v_fmac_f32_e32 v15, v5, v12
	v_fma_f32 v14, -v5, v13, v14
	v_fmac_f32_e32 v15, v4, v13
	global_store_dwordx2 v[10:11], v[14:15], off
                                        ; implicit-def: $vgpr10_vgpr11
.LBB8_45:                               ;   in Loop: Header=BB8_10 Depth=1
	s_andn2_saveexec_b64 s[6:7], s[6:7]
	s_cbranch_execz .LBB8_9
; %bb.46:                               ;   in Loop: Header=BB8_10 Depth=1
	v_mul_f32_e64 v12, v32, -v3
	v_mul_f32_e32 v13, v2, v32
	v_fmac_f32_e32 v12, v2, v37
	v_fmac_f32_e32 v13, v3, v37
	s_mov_b64 s[6:7], -1
	s_and_b64 vcc, exec, s[20:21]
	s_cbranch_vccz .LBB8_48
; %bb.47:                               ;   in Loop: Header=BB8_10 Depth=1
	v_mul_lo_u32 v16, v11, s10
	v_mul_lo_u32 v17, v10, s11
	v_mad_u64_u32 v[14:15], s[6:7], v10, s10, 0
	s_mov_b64 s[6:7], 0
	v_add3_u32 v15, v15, v17, v16
	v_lshlrev_b64 v[14:15], 3, v[14:15]
	v_add_co_u32_e32 v14, vcc, v22, v14
	v_addc_co_u32_e32 v15, vcc, v23, v15, vcc
	global_store_dwordx2 v[14:15], v[12:13], off
.LBB8_48:                               ;   in Loop: Header=BB8_10 Depth=1
	s_andn2_b64 vcc, exec, s[6:7]
	s_cbranch_vccnz .LBB8_9
; %bb.49:                               ;   in Loop: Header=BB8_10 Depth=1
	v_lshlrev_b64 v[10:11], 3, v[10:11]
	v_add_co_u32_e32 v10, vcc, v28, v10
	v_addc_co_u32_e32 v11, vcc, v29, v11, vcc
	global_store_dwordx2 v[10:11], v[12:13], off
	s_branch .LBB8_9
.LBB8_50:
	s_endpgm
	.section	.rodata,"a",@progbits
	.p2align	6, 0x0
	.amdhsa_kernel _ZN9rocsparseL29bsrmm_general_blockdim_kernelILj32ELj32Ell21rocsparse_complex_numIfES2_S2_S2_EEvb20rocsparse_direction_T2_S4_llNS_24const_host_device_scalarIT6_EEPKT1_PKS4_PKT3_S4_PKT4_llS7_PT5_ll16rocsparse_order_21rocsparse_index_base_b
		.amdhsa_group_segment_fixed_size 16384
		.amdhsa_private_segment_fixed_size 0
		.amdhsa_kernarg_size 148
		.amdhsa_user_sgpr_count 6
		.amdhsa_user_sgpr_private_segment_buffer 1
		.amdhsa_user_sgpr_dispatch_ptr 0
		.amdhsa_user_sgpr_queue_ptr 0
		.amdhsa_user_sgpr_kernarg_segment_ptr 1
		.amdhsa_user_sgpr_dispatch_id 0
		.amdhsa_user_sgpr_flat_scratch_init 0
		.amdhsa_user_sgpr_private_segment_size 0
		.amdhsa_uses_dynamic_stack 0
		.amdhsa_system_sgpr_private_segment_wavefront_offset 0
		.amdhsa_system_sgpr_workgroup_id_x 1
		.amdhsa_system_sgpr_workgroup_id_y 1
		.amdhsa_system_sgpr_workgroup_id_z 0
		.amdhsa_system_sgpr_workgroup_info 0
		.amdhsa_system_vgpr_workitem_id 1
		.amdhsa_next_free_vgpr 58
		.amdhsa_next_free_sgpr 61
		.amdhsa_reserve_vcc 1
		.amdhsa_reserve_flat_scratch 0
		.amdhsa_float_round_mode_32 0
		.amdhsa_float_round_mode_16_64 0
		.amdhsa_float_denorm_mode_32 3
		.amdhsa_float_denorm_mode_16_64 3
		.amdhsa_dx10_clamp 1
		.amdhsa_ieee_mode 1
		.amdhsa_fp16_overflow 0
		.amdhsa_exception_fp_ieee_invalid_op 0
		.amdhsa_exception_fp_denorm_src 0
		.amdhsa_exception_fp_ieee_div_zero 0
		.amdhsa_exception_fp_ieee_overflow 0
		.amdhsa_exception_fp_ieee_underflow 0
		.amdhsa_exception_fp_ieee_inexact 0
		.amdhsa_exception_int_div_zero 0
	.end_amdhsa_kernel
	.section	.text._ZN9rocsparseL29bsrmm_general_blockdim_kernelILj32ELj32Ell21rocsparse_complex_numIfES2_S2_S2_EEvb20rocsparse_direction_T2_S4_llNS_24const_host_device_scalarIT6_EEPKT1_PKS4_PKT3_S4_PKT4_llS7_PT5_ll16rocsparse_order_21rocsparse_index_base_b,"axG",@progbits,_ZN9rocsparseL29bsrmm_general_blockdim_kernelILj32ELj32Ell21rocsparse_complex_numIfES2_S2_S2_EEvb20rocsparse_direction_T2_S4_llNS_24const_host_device_scalarIT6_EEPKT1_PKS4_PKT3_S4_PKT4_llS7_PT5_ll16rocsparse_order_21rocsparse_index_base_b,comdat
.Lfunc_end8:
	.size	_ZN9rocsparseL29bsrmm_general_blockdim_kernelILj32ELj32Ell21rocsparse_complex_numIfES2_S2_S2_EEvb20rocsparse_direction_T2_S4_llNS_24const_host_device_scalarIT6_EEPKT1_PKS4_PKT3_S4_PKT4_llS7_PT5_ll16rocsparse_order_21rocsparse_index_base_b, .Lfunc_end8-_ZN9rocsparseL29bsrmm_general_blockdim_kernelILj32ELj32Ell21rocsparse_complex_numIfES2_S2_S2_EEvb20rocsparse_direction_T2_S4_llNS_24const_host_device_scalarIT6_EEPKT1_PKS4_PKT3_S4_PKT4_llS7_PT5_ll16rocsparse_order_21rocsparse_index_base_b
                                        ; -- End function
	.set _ZN9rocsparseL29bsrmm_general_blockdim_kernelILj32ELj32Ell21rocsparse_complex_numIfES2_S2_S2_EEvb20rocsparse_direction_T2_S4_llNS_24const_host_device_scalarIT6_EEPKT1_PKS4_PKT3_S4_PKT4_llS7_PT5_ll16rocsparse_order_21rocsparse_index_base_b.num_vgpr, 58
	.set _ZN9rocsparseL29bsrmm_general_blockdim_kernelILj32ELj32Ell21rocsparse_complex_numIfES2_S2_S2_EEvb20rocsparse_direction_T2_S4_llNS_24const_host_device_scalarIT6_EEPKT1_PKS4_PKT3_S4_PKT4_llS7_PT5_ll16rocsparse_order_21rocsparse_index_base_b.num_agpr, 0
	.set _ZN9rocsparseL29bsrmm_general_blockdim_kernelILj32ELj32Ell21rocsparse_complex_numIfES2_S2_S2_EEvb20rocsparse_direction_T2_S4_llNS_24const_host_device_scalarIT6_EEPKT1_PKS4_PKT3_S4_PKT4_llS7_PT5_ll16rocsparse_order_21rocsparse_index_base_b.numbered_sgpr, 60
	.set _ZN9rocsparseL29bsrmm_general_blockdim_kernelILj32ELj32Ell21rocsparse_complex_numIfES2_S2_S2_EEvb20rocsparse_direction_T2_S4_llNS_24const_host_device_scalarIT6_EEPKT1_PKS4_PKT3_S4_PKT4_llS7_PT5_ll16rocsparse_order_21rocsparse_index_base_b.num_named_barrier, 0
	.set _ZN9rocsparseL29bsrmm_general_blockdim_kernelILj32ELj32Ell21rocsparse_complex_numIfES2_S2_S2_EEvb20rocsparse_direction_T2_S4_llNS_24const_host_device_scalarIT6_EEPKT1_PKS4_PKT3_S4_PKT4_llS7_PT5_ll16rocsparse_order_21rocsparse_index_base_b.private_seg_size, 0
	.set _ZN9rocsparseL29bsrmm_general_blockdim_kernelILj32ELj32Ell21rocsparse_complex_numIfES2_S2_S2_EEvb20rocsparse_direction_T2_S4_llNS_24const_host_device_scalarIT6_EEPKT1_PKS4_PKT3_S4_PKT4_llS7_PT5_ll16rocsparse_order_21rocsparse_index_base_b.uses_vcc, 1
	.set _ZN9rocsparseL29bsrmm_general_blockdim_kernelILj32ELj32Ell21rocsparse_complex_numIfES2_S2_S2_EEvb20rocsparse_direction_T2_S4_llNS_24const_host_device_scalarIT6_EEPKT1_PKS4_PKT3_S4_PKT4_llS7_PT5_ll16rocsparse_order_21rocsparse_index_base_b.uses_flat_scratch, 0
	.set _ZN9rocsparseL29bsrmm_general_blockdim_kernelILj32ELj32Ell21rocsparse_complex_numIfES2_S2_S2_EEvb20rocsparse_direction_T2_S4_llNS_24const_host_device_scalarIT6_EEPKT1_PKS4_PKT3_S4_PKT4_llS7_PT5_ll16rocsparse_order_21rocsparse_index_base_b.has_dyn_sized_stack, 0
	.set _ZN9rocsparseL29bsrmm_general_blockdim_kernelILj32ELj32Ell21rocsparse_complex_numIfES2_S2_S2_EEvb20rocsparse_direction_T2_S4_llNS_24const_host_device_scalarIT6_EEPKT1_PKS4_PKT3_S4_PKT4_llS7_PT5_ll16rocsparse_order_21rocsparse_index_base_b.has_recursion, 0
	.set _ZN9rocsparseL29bsrmm_general_blockdim_kernelILj32ELj32Ell21rocsparse_complex_numIfES2_S2_S2_EEvb20rocsparse_direction_T2_S4_llNS_24const_host_device_scalarIT6_EEPKT1_PKS4_PKT3_S4_PKT4_llS7_PT5_ll16rocsparse_order_21rocsparse_index_base_b.has_indirect_call, 0
	.section	.AMDGPU.csdata,"",@progbits
; Kernel info:
; codeLenInByte = 3040
; TotalNumSgprs: 64
; NumVgprs: 58
; ScratchSize: 0
; MemoryBound: 0
; FloatMode: 240
; IeeeMode: 1
; LDSByteSize: 16384 bytes/workgroup (compile time only)
; SGPRBlocks: 8
; VGPRBlocks: 14
; NumSGPRsForWavesPerEU: 65
; NumVGPRsForWavesPerEU: 58
; Occupancy: 4
; WaveLimiterHint : 1
; COMPUTE_PGM_RSRC2:SCRATCH_EN: 0
; COMPUTE_PGM_RSRC2:USER_SGPR: 6
; COMPUTE_PGM_RSRC2:TRAP_HANDLER: 0
; COMPUTE_PGM_RSRC2:TGID_X_EN: 1
; COMPUTE_PGM_RSRC2:TGID_Y_EN: 1
; COMPUTE_PGM_RSRC2:TGID_Z_EN: 0
; COMPUTE_PGM_RSRC2:TIDIG_COMP_CNT: 1
	.section	.text._ZN9rocsparseL29bsrmm_general_blockdim_kernelILj32ELj32Eii21rocsparse_complex_numIdES2_S2_S2_EEvb20rocsparse_direction_T2_S4_llNS_24const_host_device_scalarIT6_EEPKT1_PKS4_PKT3_S4_PKT4_llS7_PT5_ll16rocsparse_order_21rocsparse_index_base_b,"axG",@progbits,_ZN9rocsparseL29bsrmm_general_blockdim_kernelILj32ELj32Eii21rocsparse_complex_numIdES2_S2_S2_EEvb20rocsparse_direction_T2_S4_llNS_24const_host_device_scalarIT6_EEPKT1_PKS4_PKT3_S4_PKT4_llS7_PT5_ll16rocsparse_order_21rocsparse_index_base_b,comdat
	.globl	_ZN9rocsparseL29bsrmm_general_blockdim_kernelILj32ELj32Eii21rocsparse_complex_numIdES2_S2_S2_EEvb20rocsparse_direction_T2_S4_llNS_24const_host_device_scalarIT6_EEPKT1_PKS4_PKT3_S4_PKT4_llS7_PT5_ll16rocsparse_order_21rocsparse_index_base_b ; -- Begin function _ZN9rocsparseL29bsrmm_general_blockdim_kernelILj32ELj32Eii21rocsparse_complex_numIdES2_S2_S2_EEvb20rocsparse_direction_T2_S4_llNS_24const_host_device_scalarIT6_EEPKT1_PKS4_PKT3_S4_PKT4_llS7_PT5_ll16rocsparse_order_21rocsparse_index_base_b
	.p2align	8
	.type	_ZN9rocsparseL29bsrmm_general_blockdim_kernelILj32ELj32Eii21rocsparse_complex_numIdES2_S2_S2_EEvb20rocsparse_direction_T2_S4_llNS_24const_host_device_scalarIT6_EEPKT1_PKS4_PKT3_S4_PKT4_llS7_PT5_ll16rocsparse_order_21rocsparse_index_base_b,@function
_ZN9rocsparseL29bsrmm_general_blockdim_kernelILj32ELj32Eii21rocsparse_complex_numIdES2_S2_S2_EEvb20rocsparse_direction_T2_S4_llNS_24const_host_device_scalarIT6_EEPKT1_PKS4_PKT3_S4_PKT4_llS7_PT5_ll16rocsparse_order_21rocsparse_index_base_b: ; @_ZN9rocsparseL29bsrmm_general_blockdim_kernelILj32ELj32Eii21rocsparse_complex_numIdES2_S2_S2_EEvb20rocsparse_direction_T2_S4_llNS_24const_host_device_scalarIT6_EEPKT1_PKS4_PKT3_S4_PKT4_llS7_PT5_ll16rocsparse_order_21rocsparse_index_base_b
; %bb.0:
	s_load_dwordx2 s[2:3], s[4:5], 0x20
	s_load_dwordx4 s[8:11], s[4:5], 0x90
	s_add_u32 s1, s4, 32
	s_mov_b32 s0, s7
	s_addc_u32 s7, s5, 0
	s_add_u32 s12, s4, 0x68
	s_addc_u32 s13, s5, 0
	s_waitcnt lgkmcnt(0)
	s_bitcmp1_b32 s10, 0
	s_cselect_b32 s3, s7, s3
	s_cselect_b32 s1, s1, s2
	v_mov_b32_e32 v2, s1
	v_mov_b32_e32 v3, s3
	flat_load_dwordx4 v[2:5], v[2:3]
	s_load_dwordx2 s[10:11], s[4:5], 0x68
	s_waitcnt lgkmcnt(0)
	s_cselect_b32 s1, s13, s11
	s_cselect_b32 s2, s12, s10
	v_mov_b32_e32 v6, s2
	v_mov_b32_e32 v7, s1
	flat_load_dwordx4 v[6:9], v[6:7]
	s_waitcnt vmcnt(0)
	v_cmp_eq_f64_e32 vcc, 0, v[2:3]
	v_cmp_eq_f64_e64 s[2:3], 0, v[4:5]
	s_and_b64 s[12:13], vcc, s[2:3]
	s_mov_b64 s[2:3], -1
	s_and_saveexec_b64 s[10:11], s[12:13]
	s_cbranch_execz .LBB9_2
; %bb.1:
	s_waitcnt lgkmcnt(0)
	v_cmp_neq_f64_e32 vcc, 1.0, v[6:7]
	v_cmp_neq_f64_e64 s[2:3], 0, v[8:9]
	s_or_b64 s[2:3], vcc, s[2:3]
	s_orn2_b64 s[2:3], s[2:3], exec
.LBB9_2:
	s_or_b64 exec, exec, s[10:11]
	s_and_saveexec_b64 s[10:11], s[2:3]
	s_cbranch_execz .LBB9_54
; %bb.3:
	s_load_dwordx4 s[24:27], s[4:5], 0x0
	s_load_dwordx2 s[2:3], s[4:5], 0x30
	s_mov_b32 s33, 0
	s_mov_b32 s38, 0
	s_waitcnt lgkmcnt(0)
	s_cmp_lt_i32 s6, s26
	s_cselect_b64 s[28:29], -1, 0
	s_cmp_ge_i32 s6, s26
	s_cbranch_scc0 .LBB9_6
; %bb.4:
	s_andn2_b64 vcc, exec, s[28:29]
	s_cbranch_vccz .LBB9_7
.LBB9_5:
	s_load_dword s39, s[4:5], 0x48
	s_waitcnt lgkmcnt(0)
	s_cmp_lt_i32 s39, 1
	s_cbranch_scc0 .LBB9_8
	s_branch .LBB9_54
.LBB9_6:
	s_ashr_i32 s7, s6, 31
	s_lshl_b64 s[10:11], s[6:7], 2
	s_add_u32 s10, s2, s10
	s_addc_u32 s11, s3, s11
	s_load_dword s1, s[10:11], 0x0
	s_waitcnt lgkmcnt(0)
	s_sub_i32 s38, s1, s9
	s_andn2_b64 vcc, exec, s[28:29]
	s_cbranch_vccnz .LBB9_5
.LBB9_7:
	s_ashr_i32 s7, s6, 31
	s_lshl_b64 s[10:11], s[6:7], 2
	s_add_u32 s2, s2, s10
	s_addc_u32 s3, s3, s11
	s_load_dword s1, s[2:3], 0x4
	s_waitcnt lgkmcnt(0)
	s_sub_i32 s33, s1, s9
	s_load_dword s39, s[4:5], 0x48
	s_waitcnt lgkmcnt(0)
	s_cmp_lt_i32 s39, 1
	s_cbranch_scc1 .LBB9_54
.LBB9_8:
	s_load_dwordx4 s[12:15], s[4:5], 0x78
	s_load_dwordx4 s[16:19], s[4:5], 0x38
	;; [unrolled: 1-line block ×3, first 2 shown]
	v_lshl_add_u32 v10, s0, 5, v1
	v_ashrrev_i32_e32 v11, 31, v10
	v_lshlrev_b64 v[12:13], 4, v[10:11]
	s_bitcmp1_b32 s24, 0
	s_cselect_b64 s[2:3], -1, 0
	s_waitcnt lgkmcnt(0)
	v_mov_b32_e32 v17, s21
	v_add_co_u32_e32 v23, vcc, s20, v12
	s_xor_b64 s[10:11], s[2:3], -1
	v_mad_u64_u32 v[14:15], s[2:3], s22, v10, 0
	v_addc_co_u32_e32 v24, vcc, v17, v13, vcc
	v_mul_lo_u32 v18, s22, v11
	v_mul_lo_u32 v19, s23, v10
	v_cmp_neq_f64_e32 vcc, 0, v[6:7]
	v_cmp_neq_f64_e64 s[2:3], 0, v[8:9]
	s_cmp_lt_i32 s38, s33
	v_add3_u32 v15, v15, v18, v19
	v_lshlrev_b64 v[14:15], 4, v[14:15]
	s_cselect_b64 s[30:31], -1, 0
	v_add_co_u32_e64 v26, s[4:5], s20, v14
	s_cmp_lg_u32 s25, 0
	s_mul_i32 s40, s39, s6
	v_cmp_gt_i32_e64 s[0:1], s27, v10
	v_addc_co_u32_e64 v27, s[4:5], v17, v15, s[4:5]
	s_cselect_b64 s[6:7], -1, 0
	s_or_b64 s[24:25], vcc, s[2:3]
	v_mul_lo_u32 v15, s14, v11
	v_mul_lo_u32 v17, s15, v10
	v_mad_u64_u32 v[10:11], s[2:3], s14, v10, 0
	v_mov_b32_e32 v14, s13
	v_add_co_u32_e32 v28, vcc, s12, v12
	v_add3_u32 v11, v11, v15, v17
	v_lshlrev_b64 v[10:11], 4, v[10:11]
	v_addc_co_u32_e32 v29, vcc, v14, v13, vcc
	s_mul_i32 s2, s38, s39
	v_add_co_u32_e32 v30, vcc, s12, v10
	v_add_u32_e32 v10, s2, v0
	v_mad_u64_u32 v[14:15], s[2:3], s39, v10, v[1:2]
	v_lshlrev_b32_e32 v22, 4, v0
	s_and_b64 s[20:21], s[28:29], s[0:1]
	v_or_b32_e32 v16, 0x4000, v22
	v_lshlrev_b32_e32 v25, 9, v1
	s_cmp_lg_u32 s8, 1
	v_mov_b32_e32 v12, s13
	v_cndmask_b32_e64 v10, 0, 1, s[30:31]
	s_mov_b32 s41, 0
	s_cselect_b64 s[26:27], -1, 0
	v_addc_co_u32_e32 v31, vcc, v12, v11, vcc
	s_lshl_b32 s8, s39, 5
	s_mul_i32 s42, s39, s39
	v_cmp_ne_u32_e64 s[2:3], 1, v10
	v_add_u32_e32 v32, v16, v25
	s_branch .LBB9_10
.LBB9_9:                                ;   in Loop: Header=BB9_10 Depth=1
	s_or_b64 exec, exec, s[4:5]
	s_add_i32 s41, s41, 32
	s_cmp_lt_i32 s41, s39
	v_add_u32_e32 v14, s8, v14
	s_cbranch_scc0 .LBB9_54
.LBB9_10:                               ; =>This Loop Header: Depth=1
                                        ;     Child Loop BB9_13 Depth 2
                                        ;       Child Loop BB9_15 Depth 3
	v_add_u32_e32 v15, s41, v0
	v_mov_b32_e32 v16, 0
	v_mov_b32_e32 v18, 0
	;; [unrolled: 1-line block ×3, first 2 shown]
	s_and_b64 vcc, exec, s[2:3]
	v_mov_b32_e32 v19, 0
	v_cmp_gt_i32_e64 s[4:5], s39, v15
	s_cbranch_vccnz .LBB9_43
; %bb.11:                               ;   in Loop: Header=BB9_10 Depth=1
	v_mov_b32_e32 v16, 0
	v_mov_b32_e32 v18, 0
	;; [unrolled: 1-line block ×5, first 2 shown]
	s_mov_b32 s12, s38
	s_branch .LBB9_13
.LBB9_12:                               ;   in Loop: Header=BB9_13 Depth=2
	s_add_i32 s12, s12, 1
	s_cmp_ge_i32 s12, s33
	v_add_u32_e32 v33, s42, v33
	s_cbranch_scc1 .LBB9_43
.LBB9_13:                               ;   Parent Loop BB9_10 Depth=1
                                        ; =>  This Loop Header: Depth=2
                                        ;       Child Loop BB9_15 Depth 3
	s_ashr_i32 s13, s12, 31
	s_lshl_b64 s[28:29], s[12:13], 2
	s_add_u32 s28, s16, s28
	s_addc_u32 s29, s17, s29
	s_load_dword s28, s[28:29], 0x0
	s_mul_i32 s13, s12, s39
	s_mov_b32 s43, 0
	s_waitcnt lgkmcnt(0)
	s_sub_i32 s28, s28, s9
	s_mul_i32 s28, s28, s39
	v_add_u32_e32 v34, s28, v0
	s_branch .LBB9_15
.LBB9_14:                               ;   in Loop: Header=BB9_15 Depth=3
	s_or_b64 exec, exec, s[30:31]
	v_add_u32_e32 v20, v22, v25
	s_waitcnt vmcnt(0)
	ds_write_b128 v20, v[10:13]
	s_waitcnt lgkmcnt(0)
	s_barrier
	ds_read_b128 v[10:13], v22
	ds_read_b128 v[35:38], v25 offset:16384
	ds_read_b128 v[39:42], v25 offset:16400
	;; [unrolled: 1-line block ×3, first 2 shown]
	s_add_i32 s43, s43, 32
	s_cmp_ge_i32 s43, s39
	s_waitcnt lgkmcnt(2)
	v_fma_f64 v[18:19], v[10:11], v[35:36], v[18:19]
	v_fma_f64 v[16:17], v[12:13], v[35:36], v[16:17]
	v_fma_f64 v[12:13], -v[12:13], v[37:38], v[18:19]
	v_fma_f64 v[10:11], v[10:11], v[37:38], v[16:17]
	s_waitcnt lgkmcnt(0)
	v_fma_f64 v[12:13], v[43:44], v[39:40], v[12:13]
	v_fma_f64 v[10:11], v[45:46], v[39:40], v[10:11]
	v_fma_f64 v[20:21], -v[45:46], v[41:42], v[12:13]
	v_fma_f64 v[43:44], v[43:44], v[41:42], v[10:11]
	ds_read_b128 v[10:13], v22 offset:1024
	ds_read_b128 v[16:19], v25 offset:16416
	ds_read_b128 v[35:38], v25 offset:16432
	ds_read_b128 v[39:42], v22 offset:1536
	s_waitcnt lgkmcnt(2)
	v_fma_f64 v[20:21], v[10:11], v[16:17], v[20:21]
	v_fma_f64 v[16:17], v[12:13], v[16:17], v[43:44]
	v_fma_f64 v[12:13], -v[12:13], v[18:19], v[20:21]
	v_fma_f64 v[10:11], v[10:11], v[18:19], v[16:17]
	s_waitcnt lgkmcnt(0)
	v_fma_f64 v[12:13], v[39:40], v[35:36], v[12:13]
	v_fma_f64 v[10:11], v[41:42], v[35:36], v[10:11]
	v_fma_f64 v[20:21], -v[41:42], v[37:38], v[12:13]
	v_fma_f64 v[43:44], v[39:40], v[37:38], v[10:11]
	ds_read_b128 v[10:13], v25 offset:16448
	ds_read_b128 v[16:19], v22 offset:2048
	ds_read_b128 v[35:38], v22 offset:2560
	ds_read_b128 v[39:42], v25 offset:16464
	;; [unrolled: 14-line block ×15, first 2 shown]
	s_waitcnt lgkmcnt(0)
	s_barrier
	v_fma_f64 v[20:21], v[16:17], v[10:11], v[20:21]
	v_fma_f64 v[10:11], v[18:19], v[10:11], v[43:44]
	v_fma_f64 v[18:19], -v[18:19], v[12:13], v[20:21]
	v_fma_f64 v[10:11], v[16:17], v[12:13], v[10:11]
	v_fma_f64 v[12:13], v[35:36], v[39:40], v[18:19]
	;; [unrolled: 1-line block ×3, first 2 shown]
	v_fma_f64 v[18:19], -v[37:38], v[41:42], v[12:13]
	v_fma_f64 v[16:17], v[35:36], v[41:42], v[10:11]
	s_cbranch_scc1 .LBB9_12
.LBB9_15:                               ;   Parent Loop BB9_10 Depth=1
                                        ;     Parent Loop BB9_13 Depth=2
                                        ; =>    This Inner Loop Header: Depth=3
	s_and_b64 vcc, exec, s[10:11]
	s_cbranch_vccz .LBB9_21
; %bb.16:                               ;   in Loop: Header=BB9_15 Depth=3
	s_mov_b64 s[30:31], 0
	s_mov_b64 s[28:29], 0
                                        ; implicit-def: $vgpr20_vgpr21
	s_and_saveexec_b64 s[34:35], s[0:1]
	s_cbranch_execz .LBB9_20
; %bb.17:                               ;   in Loop: Header=BB9_15 Depth=3
	v_add_u32_e32 v10, s43, v0
	v_cmp_gt_i32_e32 vcc, s39, v10
                                        ; implicit-def: $vgpr20_vgpr21
	s_and_saveexec_b64 s[36:37], vcc
	s_xor_b64 s[36:37], exec, s[36:37]
	s_cbranch_execz .LBB9_19
; %bb.18:                               ;   in Loop: Header=BB9_15 Depth=3
	v_add_u32_e32 v10, s43, v34
	v_ashrrev_i32_e32 v11, 31, v10
	v_mul_lo_u32 v12, s22, v11
	v_mul_lo_u32 v13, s23, v10
	v_mad_u64_u32 v[10:11], s[44:45], s22, v10, 0
	s_mov_b64 s[28:29], exec
	v_add3_u32 v11, v11, v12, v13
	v_lshlrev_b64 v[10:11], 4, v[10:11]
	v_add_co_u32_e32 v20, vcc, v23, v10
	v_addc_co_u32_e32 v21, vcc, v24, v11, vcc
.LBB9_19:                               ;   in Loop: Header=BB9_15 Depth=3
	s_or_b64 exec, exec, s[36:37]
	s_and_b64 s[28:29], s[28:29], exec
.LBB9_20:                               ;   in Loop: Header=BB9_15 Depth=3
	s_or_b64 exec, exec, s[34:35]
	s_and_b64 vcc, exec, s[30:31]
	s_cbranch_vccnz .LBB9_22
	s_branch .LBB9_27
.LBB9_21:                               ;   in Loop: Header=BB9_15 Depth=3
	s_mov_b64 s[28:29], 0
                                        ; implicit-def: $vgpr20_vgpr21
	s_cbranch_execz .LBB9_27
.LBB9_22:                               ;   in Loop: Header=BB9_15 Depth=3
                                        ; implicit-def: $vgpr20_vgpr21
	s_and_saveexec_b64 s[30:31], s[0:1]
	s_cbranch_execz .LBB9_26
; %bb.23:                               ;   in Loop: Header=BB9_15 Depth=3
	v_add_u32_e32 v10, s43, v0
	v_cmp_gt_i32_e32 vcc, s39, v10
	s_mov_b64 s[36:37], s[28:29]
                                        ; implicit-def: $vgpr20_vgpr21
	s_and_saveexec_b64 s[34:35], vcc
; %bb.24:                               ;   in Loop: Header=BB9_15 Depth=3
	v_add_u32_e32 v10, s43, v34
	v_ashrrev_i32_e32 v11, 31, v10
	v_lshlrev_b64 v[10:11], 4, v[10:11]
	s_or_b64 s[36:37], s[28:29], exec
	v_add_co_u32_e32 v20, vcc, v26, v10
	v_addc_co_u32_e32 v21, vcc, v27, v11, vcc
; %bb.25:                               ;   in Loop: Header=BB9_15 Depth=3
	s_or_b64 exec, exec, s[34:35]
	s_andn2_b64 s[28:29], s[28:29], exec
	s_and_b64 s[34:35], s[36:37], exec
	s_or_b64 s[28:29], s[28:29], s[34:35]
.LBB9_26:                               ;   in Loop: Header=BB9_15 Depth=3
	s_or_b64 exec, exec, s[30:31]
.LBB9_27:                               ;   in Loop: Header=BB9_15 Depth=3
	v_mov_b32_e32 v10, 0
	v_mov_b32_e32 v12, 0
	v_mov_b32_e32 v11, 0
	v_mov_b32_e32 v13, 0
	s_and_saveexec_b64 s[30:31], s[28:29]
	s_cbranch_execz .LBB9_29
; %bb.28:                               ;   in Loop: Header=BB9_15 Depth=3
	global_load_dwordx4 v[10:13], v[20:21], off
.LBB9_29:                               ;   in Loop: Header=BB9_15 Depth=3
	s_or_b64 exec, exec, s[30:31]
	s_and_b64 vcc, exec, s[6:7]
	s_waitcnt vmcnt(0)
	ds_write_b128 v32, v[10:13]
	s_cbranch_vccz .LBB9_35
; %bb.30:                               ;   in Loop: Header=BB9_15 Depth=3
	s_mov_b64 s[30:31], 0
	s_mov_b64 s[28:29], 0
                                        ; implicit-def: $vgpr20
	s_and_saveexec_b64 s[34:35], s[4:5]
	s_cbranch_execz .LBB9_34
; %bb.31:                               ;   in Loop: Header=BB9_15 Depth=3
	v_add_u32_e32 v10, s43, v1
	v_cmp_gt_i32_e32 vcc, s39, v10
                                        ; implicit-def: $vgpr20
	s_and_saveexec_b64 s[36:37], vcc
	s_xor_b64 s[36:37], exec, s[36:37]
; %bb.32:                               ;   in Loop: Header=BB9_15 Depth=3
	v_add_u32_e32 v10, s13, v10
	s_mov_b64 s[28:29], exec
	v_mad_u64_u32 v[20:21], s[44:45], v10, s39, v[15:16]
; %bb.33:                               ;   in Loop: Header=BB9_15 Depth=3
	s_or_b64 exec, exec, s[36:37]
	s_and_b64 s[28:29], s[28:29], exec
.LBB9_34:                               ;   in Loop: Header=BB9_15 Depth=3
	s_or_b64 exec, exec, s[34:35]
	s_and_b64 vcc, exec, s[30:31]
	s_cbranch_vccnz .LBB9_36
	s_branch .LBB9_41
.LBB9_35:                               ;   in Loop: Header=BB9_15 Depth=3
	s_mov_b64 s[28:29], 0
                                        ; implicit-def: $vgpr20
	s_cbranch_execz .LBB9_41
.LBB9_36:                               ;   in Loop: Header=BB9_15 Depth=3
                                        ; implicit-def: $vgpr20
	s_and_saveexec_b64 s[30:31], s[4:5]
	s_cbranch_execz .LBB9_40
; %bb.37:                               ;   in Loop: Header=BB9_15 Depth=3
	v_add_u32_e32 v10, s43, v1
	v_cmp_gt_i32_e32 vcc, s39, v10
	s_mov_b64 s[34:35], s[28:29]
                                        ; implicit-def: $vgpr20
	s_and_saveexec_b64 s[36:37], vcc
; %bb.38:                               ;   in Loop: Header=BB9_15 Depth=3
	v_add_u32_e32 v20, s43, v33
	s_or_b64 s[34:35], s[28:29], exec
; %bb.39:                               ;   in Loop: Header=BB9_15 Depth=3
	s_or_b64 exec, exec, s[36:37]
	s_andn2_b64 s[28:29], s[28:29], exec
	s_and_b64 s[34:35], s[34:35], exec
	s_or_b64 s[28:29], s[28:29], s[34:35]
.LBB9_40:                               ;   in Loop: Header=BB9_15 Depth=3
	s_or_b64 exec, exec, s[30:31]
.LBB9_41:                               ;   in Loop: Header=BB9_15 Depth=3
	v_mov_b32_e32 v10, 0
	v_mov_b32_e32 v12, 0
	;; [unrolled: 1-line block ×4, first 2 shown]
	s_and_saveexec_b64 s[30:31], s[28:29]
	s_cbranch_execz .LBB9_14
; %bb.42:                               ;   in Loop: Header=BB9_15 Depth=3
	v_ashrrev_i32_e32 v21, 31, v20
	v_lshlrev_b64 v[10:11], 4, v[20:21]
	v_mov_b32_e32 v12, s19
	v_add_co_u32_e32 v10, vcc, s18, v10
	v_addc_co_u32_e32 v11, vcc, v12, v11, vcc
	global_load_dwordx4 v[10:13], v[10:11], off
	s_branch .LBB9_14
.LBB9_43:                               ;   in Loop: Header=BB9_10 Depth=1
	v_cmp_gt_i32_e32 vcc, s39, v15
	s_and_b64 s[12:13], s[20:21], vcc
	s_and_saveexec_b64 s[4:5], s[12:13]
	s_cbranch_execz .LBB9_9
; %bb.44:                               ;   in Loop: Header=BB9_10 Depth=1
	v_add_u32_e32 v20, s40, v15
	v_ashrrev_i32_e32 v21, 31, v20
	s_and_saveexec_b64 s[12:13], s[24:25]
	s_xor_b64 s[12:13], exec, s[12:13]
	s_cbranch_execz .LBB9_49
; %bb.45:                               ;   in Loop: Header=BB9_10 Depth=1
	s_mov_b64 s[28:29], -1
	s_and_b64 vcc, exec, s[26:27]
	s_cbranch_vccz .LBB9_47
; %bb.46:                               ;   in Loop: Header=BB9_10 Depth=1
	v_mul_lo_u32 v12, s15, v20
	v_mul_lo_u32 v13, s14, v21
	v_mad_u64_u32 v[10:11], s[28:29], s14, v20, 0
	v_mul_f64 v[35:36], v[16:17], -v[4:5]
	v_mul_f64 v[37:38], v[2:3], v[16:17]
	v_add3_u32 v11, v11, v13, v12
	v_lshlrev_b64 v[10:11], 4, v[10:11]
	s_mov_b64 s[28:29], 0
	v_add_co_u32_e32 v33, vcc, v28, v10
	v_addc_co_u32_e32 v34, vcc, v29, v11, vcc
	global_load_dwordx4 v[10:13], v[33:34], off
	v_fma_f64 v[35:36], v[2:3], v[18:19], v[35:36]
	v_fma_f64 v[37:38], v[4:5], v[18:19], v[37:38]
	s_waitcnt vmcnt(0)
	v_fma_f64 v[35:36], v[6:7], v[10:11], v[35:36]
	v_fma_f64 v[37:38], v[8:9], v[10:11], v[37:38]
	v_fma_f64 v[10:11], -v[8:9], v[12:13], v[35:36]
	v_fma_f64 v[12:13], v[6:7], v[12:13], v[37:38]
	global_store_dwordx4 v[33:34], v[10:13], off
.LBB9_47:                               ;   in Loop: Header=BB9_10 Depth=1
	s_andn2_b64 vcc, exec, s[28:29]
	s_cbranch_vccnz .LBB9_49
; %bb.48:                               ;   in Loop: Header=BB9_10 Depth=1
	v_lshlrev_b64 v[10:11], 4, v[20:21]
	v_mul_f64 v[33:34], v[16:17], -v[4:5]
	v_add_co_u32_e32 v20, vcc, v30, v10
	v_addc_co_u32_e32 v21, vcc, v31, v11, vcc
	global_load_dwordx4 v[10:13], v[20:21], off
	v_mul_f64 v[15:16], v[2:3], v[16:17]
	v_fma_f64 v[33:34], v[2:3], v[18:19], v[33:34]
	v_fma_f64 v[15:16], v[4:5], v[18:19], v[15:16]
	s_waitcnt vmcnt(0)
	v_fma_f64 v[17:18], v[6:7], v[10:11], v[33:34]
	v_fma_f64 v[15:16], v[8:9], v[10:11], v[15:16]
	v_fma_f64 v[10:11], -v[8:9], v[12:13], v[17:18]
	v_fma_f64 v[12:13], v[6:7], v[12:13], v[15:16]
                                        ; implicit-def: $vgpr16_vgpr17
                                        ; implicit-def: $vgpr18_vgpr19
	global_store_dwordx4 v[20:21], v[10:13], off
                                        ; implicit-def: $vgpr20
.LBB9_49:                               ;   in Loop: Header=BB9_10 Depth=1
	s_andn2_saveexec_b64 s[12:13], s[12:13]
	s_cbranch_execz .LBB9_9
; %bb.50:                               ;   in Loop: Header=BB9_10 Depth=1
	v_mul_f64 v[10:11], v[16:17], -v[4:5]
	v_mul_f64 v[12:13], v[2:3], v[16:17]
	s_mov_b64 s[12:13], -1
	s_and_b64 vcc, exec, s[26:27]
	v_fma_f64 v[10:11], v[2:3], v[18:19], v[10:11]
	v_fma_f64 v[12:13], v[4:5], v[18:19], v[12:13]
	s_cbranch_vccz .LBB9_52
; %bb.51:                               ;   in Loop: Header=BB9_10 Depth=1
	v_mul_lo_u32 v17, s15, v20
	v_mul_lo_u32 v18, s14, v21
	v_mad_u64_u32 v[15:16], s[12:13], s14, v20, 0
	s_mov_b64 s[12:13], 0
	v_add3_u32 v16, v16, v18, v17
	v_lshlrev_b64 v[15:16], 4, v[15:16]
	v_add_co_u32_e32 v15, vcc, v28, v15
	v_addc_co_u32_e32 v16, vcc, v29, v16, vcc
	global_store_dwordx4 v[15:16], v[10:13], off
.LBB9_52:                               ;   in Loop: Header=BB9_10 Depth=1
	s_andn2_b64 vcc, exec, s[12:13]
	s_cbranch_vccnz .LBB9_9
; %bb.53:                               ;   in Loop: Header=BB9_10 Depth=1
	v_lshlrev_b64 v[15:16], 4, v[20:21]
	v_add_co_u32_e32 v15, vcc, v30, v15
	v_addc_co_u32_e32 v16, vcc, v31, v16, vcc
	global_store_dwordx4 v[15:16], v[10:13], off
	s_branch .LBB9_9
.LBB9_54:
	s_endpgm
	.section	.rodata,"a",@progbits
	.p2align	6, 0x0
	.amdhsa_kernel _ZN9rocsparseL29bsrmm_general_blockdim_kernelILj32ELj32Eii21rocsparse_complex_numIdES2_S2_S2_EEvb20rocsparse_direction_T2_S4_llNS_24const_host_device_scalarIT6_EEPKT1_PKS4_PKT3_S4_PKT4_llS7_PT5_ll16rocsparse_order_21rocsparse_index_base_b
		.amdhsa_group_segment_fixed_size 32768
		.amdhsa_private_segment_fixed_size 0
		.amdhsa_kernarg_size 156
		.amdhsa_user_sgpr_count 6
		.amdhsa_user_sgpr_private_segment_buffer 1
		.amdhsa_user_sgpr_dispatch_ptr 0
		.amdhsa_user_sgpr_queue_ptr 0
		.amdhsa_user_sgpr_kernarg_segment_ptr 1
		.amdhsa_user_sgpr_dispatch_id 0
		.amdhsa_user_sgpr_flat_scratch_init 0
		.amdhsa_user_sgpr_private_segment_size 0
		.amdhsa_uses_dynamic_stack 0
		.amdhsa_system_sgpr_private_segment_wavefront_offset 0
		.amdhsa_system_sgpr_workgroup_id_x 1
		.amdhsa_system_sgpr_workgroup_id_y 1
		.amdhsa_system_sgpr_workgroup_id_z 0
		.amdhsa_system_sgpr_workgroup_info 0
		.amdhsa_system_vgpr_workitem_id 1
		.amdhsa_next_free_vgpr 47
		.amdhsa_next_free_sgpr 61
		.amdhsa_reserve_vcc 1
		.amdhsa_reserve_flat_scratch 0
		.amdhsa_float_round_mode_32 0
		.amdhsa_float_round_mode_16_64 0
		.amdhsa_float_denorm_mode_32 3
		.amdhsa_float_denorm_mode_16_64 3
		.amdhsa_dx10_clamp 1
		.amdhsa_ieee_mode 1
		.amdhsa_fp16_overflow 0
		.amdhsa_exception_fp_ieee_invalid_op 0
		.amdhsa_exception_fp_denorm_src 0
		.amdhsa_exception_fp_ieee_div_zero 0
		.amdhsa_exception_fp_ieee_overflow 0
		.amdhsa_exception_fp_ieee_underflow 0
		.amdhsa_exception_fp_ieee_inexact 0
		.amdhsa_exception_int_div_zero 0
	.end_amdhsa_kernel
	.section	.text._ZN9rocsparseL29bsrmm_general_blockdim_kernelILj32ELj32Eii21rocsparse_complex_numIdES2_S2_S2_EEvb20rocsparse_direction_T2_S4_llNS_24const_host_device_scalarIT6_EEPKT1_PKS4_PKT3_S4_PKT4_llS7_PT5_ll16rocsparse_order_21rocsparse_index_base_b,"axG",@progbits,_ZN9rocsparseL29bsrmm_general_blockdim_kernelILj32ELj32Eii21rocsparse_complex_numIdES2_S2_S2_EEvb20rocsparse_direction_T2_S4_llNS_24const_host_device_scalarIT6_EEPKT1_PKS4_PKT3_S4_PKT4_llS7_PT5_ll16rocsparse_order_21rocsparse_index_base_b,comdat
.Lfunc_end9:
	.size	_ZN9rocsparseL29bsrmm_general_blockdim_kernelILj32ELj32Eii21rocsparse_complex_numIdES2_S2_S2_EEvb20rocsparse_direction_T2_S4_llNS_24const_host_device_scalarIT6_EEPKT1_PKS4_PKT3_S4_PKT4_llS7_PT5_ll16rocsparse_order_21rocsparse_index_base_b, .Lfunc_end9-_ZN9rocsparseL29bsrmm_general_blockdim_kernelILj32ELj32Eii21rocsparse_complex_numIdES2_S2_S2_EEvb20rocsparse_direction_T2_S4_llNS_24const_host_device_scalarIT6_EEPKT1_PKS4_PKT3_S4_PKT4_llS7_PT5_ll16rocsparse_order_21rocsparse_index_base_b
                                        ; -- End function
	.set _ZN9rocsparseL29bsrmm_general_blockdim_kernelILj32ELj32Eii21rocsparse_complex_numIdES2_S2_S2_EEvb20rocsparse_direction_T2_S4_llNS_24const_host_device_scalarIT6_EEPKT1_PKS4_PKT3_S4_PKT4_llS7_PT5_ll16rocsparse_order_21rocsparse_index_base_b.num_vgpr, 47
	.set _ZN9rocsparseL29bsrmm_general_blockdim_kernelILj32ELj32Eii21rocsparse_complex_numIdES2_S2_S2_EEvb20rocsparse_direction_T2_S4_llNS_24const_host_device_scalarIT6_EEPKT1_PKS4_PKT3_S4_PKT4_llS7_PT5_ll16rocsparse_order_21rocsparse_index_base_b.num_agpr, 0
	.set _ZN9rocsparseL29bsrmm_general_blockdim_kernelILj32ELj32Eii21rocsparse_complex_numIdES2_S2_S2_EEvb20rocsparse_direction_T2_S4_llNS_24const_host_device_scalarIT6_EEPKT1_PKS4_PKT3_S4_PKT4_llS7_PT5_ll16rocsparse_order_21rocsparse_index_base_b.numbered_sgpr, 46
	.set _ZN9rocsparseL29bsrmm_general_blockdim_kernelILj32ELj32Eii21rocsparse_complex_numIdES2_S2_S2_EEvb20rocsparse_direction_T2_S4_llNS_24const_host_device_scalarIT6_EEPKT1_PKS4_PKT3_S4_PKT4_llS7_PT5_ll16rocsparse_order_21rocsparse_index_base_b.num_named_barrier, 0
	.set _ZN9rocsparseL29bsrmm_general_blockdim_kernelILj32ELj32Eii21rocsparse_complex_numIdES2_S2_S2_EEvb20rocsparse_direction_T2_S4_llNS_24const_host_device_scalarIT6_EEPKT1_PKS4_PKT3_S4_PKT4_llS7_PT5_ll16rocsparse_order_21rocsparse_index_base_b.private_seg_size, 0
	.set _ZN9rocsparseL29bsrmm_general_blockdim_kernelILj32ELj32Eii21rocsparse_complex_numIdES2_S2_S2_EEvb20rocsparse_direction_T2_S4_llNS_24const_host_device_scalarIT6_EEPKT1_PKS4_PKT3_S4_PKT4_llS7_PT5_ll16rocsparse_order_21rocsparse_index_base_b.uses_vcc, 1
	.set _ZN9rocsparseL29bsrmm_general_blockdim_kernelILj32ELj32Eii21rocsparse_complex_numIdES2_S2_S2_EEvb20rocsparse_direction_T2_S4_llNS_24const_host_device_scalarIT6_EEPKT1_PKS4_PKT3_S4_PKT4_llS7_PT5_ll16rocsparse_order_21rocsparse_index_base_b.uses_flat_scratch, 0
	.set _ZN9rocsparseL29bsrmm_general_blockdim_kernelILj32ELj32Eii21rocsparse_complex_numIdES2_S2_S2_EEvb20rocsparse_direction_T2_S4_llNS_24const_host_device_scalarIT6_EEPKT1_PKS4_PKT3_S4_PKT4_llS7_PT5_ll16rocsparse_order_21rocsparse_index_base_b.has_dyn_sized_stack, 0
	.set _ZN9rocsparseL29bsrmm_general_blockdim_kernelILj32ELj32Eii21rocsparse_complex_numIdES2_S2_S2_EEvb20rocsparse_direction_T2_S4_llNS_24const_host_device_scalarIT6_EEPKT1_PKS4_PKT3_S4_PKT4_llS7_PT5_ll16rocsparse_order_21rocsparse_index_base_b.has_recursion, 0
	.set _ZN9rocsparseL29bsrmm_general_blockdim_kernelILj32ELj32Eii21rocsparse_complex_numIdES2_S2_S2_EEvb20rocsparse_direction_T2_S4_llNS_24const_host_device_scalarIT6_EEPKT1_PKS4_PKT3_S4_PKT4_llS7_PT5_ll16rocsparse_order_21rocsparse_index_base_b.has_indirect_call, 0
	.section	.AMDGPU.csdata,"",@progbits
; Kernel info:
; codeLenInByte = 3416
; TotalNumSgprs: 50
; NumVgprs: 47
; ScratchSize: 0
; MemoryBound: 1
; FloatMode: 240
; IeeeMode: 1
; LDSByteSize: 32768 bytes/workgroup (compile time only)
; SGPRBlocks: 8
; VGPRBlocks: 11
; NumSGPRsForWavesPerEU: 65
; NumVGPRsForWavesPerEU: 47
; Occupancy: 5
; WaveLimiterHint : 0
; COMPUTE_PGM_RSRC2:SCRATCH_EN: 0
; COMPUTE_PGM_RSRC2:USER_SGPR: 6
; COMPUTE_PGM_RSRC2:TRAP_HANDLER: 0
; COMPUTE_PGM_RSRC2:TGID_X_EN: 1
; COMPUTE_PGM_RSRC2:TGID_Y_EN: 1
; COMPUTE_PGM_RSRC2:TGID_Z_EN: 0
; COMPUTE_PGM_RSRC2:TIDIG_COMP_CNT: 1
	.section	.text._ZN9rocsparseL29bsrmm_general_blockdim_kernelILj32ELj32Eli21rocsparse_complex_numIdES2_S2_S2_EEvb20rocsparse_direction_T2_S4_llNS_24const_host_device_scalarIT6_EEPKT1_PKS4_PKT3_S4_PKT4_llS7_PT5_ll16rocsparse_order_21rocsparse_index_base_b,"axG",@progbits,_ZN9rocsparseL29bsrmm_general_blockdim_kernelILj32ELj32Eli21rocsparse_complex_numIdES2_S2_S2_EEvb20rocsparse_direction_T2_S4_llNS_24const_host_device_scalarIT6_EEPKT1_PKS4_PKT3_S4_PKT4_llS7_PT5_ll16rocsparse_order_21rocsparse_index_base_b,comdat
	.globl	_ZN9rocsparseL29bsrmm_general_blockdim_kernelILj32ELj32Eli21rocsparse_complex_numIdES2_S2_S2_EEvb20rocsparse_direction_T2_S4_llNS_24const_host_device_scalarIT6_EEPKT1_PKS4_PKT3_S4_PKT4_llS7_PT5_ll16rocsparse_order_21rocsparse_index_base_b ; -- Begin function _ZN9rocsparseL29bsrmm_general_blockdim_kernelILj32ELj32Eli21rocsparse_complex_numIdES2_S2_S2_EEvb20rocsparse_direction_T2_S4_llNS_24const_host_device_scalarIT6_EEPKT1_PKS4_PKT3_S4_PKT4_llS7_PT5_ll16rocsparse_order_21rocsparse_index_base_b
	.p2align	8
	.type	_ZN9rocsparseL29bsrmm_general_blockdim_kernelILj32ELj32Eli21rocsparse_complex_numIdES2_S2_S2_EEvb20rocsparse_direction_T2_S4_llNS_24const_host_device_scalarIT6_EEPKT1_PKS4_PKT3_S4_PKT4_llS7_PT5_ll16rocsparse_order_21rocsparse_index_base_b,@function
_ZN9rocsparseL29bsrmm_general_blockdim_kernelILj32ELj32Eli21rocsparse_complex_numIdES2_S2_S2_EEvb20rocsparse_direction_T2_S4_llNS_24const_host_device_scalarIT6_EEPKT1_PKS4_PKT3_S4_PKT4_llS7_PT5_ll16rocsparse_order_21rocsparse_index_base_b: ; @_ZN9rocsparseL29bsrmm_general_blockdim_kernelILj32ELj32Eli21rocsparse_complex_numIdES2_S2_S2_EEvb20rocsparse_direction_T2_S4_llNS_24const_host_device_scalarIT6_EEPKT1_PKS4_PKT3_S4_PKT4_llS7_PT5_ll16rocsparse_order_21rocsparse_index_base_b
; %bb.0:
	s_load_dwordx2 s[2:3], s[4:5], 0x20
	s_load_dwordx4 s[8:11], s[4:5], 0x90
	s_add_u32 s1, s4, 32
	s_mov_b32 s0, s7
	s_addc_u32 s7, s5, 0
	s_add_u32 s12, s4, 0x68
	s_addc_u32 s13, s5, 0
	s_waitcnt lgkmcnt(0)
	s_bitcmp1_b32 s10, 0
	s_cselect_b32 s3, s7, s3
	s_cselect_b32 s1, s1, s2
	v_mov_b32_e32 v2, s1
	v_mov_b32_e32 v3, s3
	flat_load_dwordx4 v[2:5], v[2:3]
	s_load_dwordx2 s[10:11], s[4:5], 0x68
	s_waitcnt lgkmcnt(0)
	s_cselect_b32 s1, s13, s11
	s_cselect_b32 s2, s12, s10
	v_mov_b32_e32 v6, s2
	v_mov_b32_e32 v7, s1
	flat_load_dwordx4 v[6:9], v[6:7]
	s_waitcnt vmcnt(0)
	v_cmp_eq_f64_e32 vcc, 0, v[2:3]
	v_cmp_eq_f64_e64 s[2:3], 0, v[4:5]
	s_and_b64 s[12:13], vcc, s[2:3]
	s_mov_b64 s[2:3], -1
	s_and_saveexec_b64 s[10:11], s[12:13]
	s_cbranch_execz .LBB10_2
; %bb.1:
	s_waitcnt lgkmcnt(0)
	v_cmp_neq_f64_e32 vcc, 1.0, v[6:7]
	v_cmp_neq_f64_e64 s[2:3], 0, v[8:9]
	s_or_b64 s[2:3], vcc, s[2:3]
	s_orn2_b64 s[2:3], s[2:3], exec
.LBB10_2:
	s_or_b64 exec, exec, s[10:11]
	s_and_saveexec_b64 s[10:11], s[2:3]
	s_cbranch_execz .LBB10_51
; %bb.3:
	s_load_dwordx4 s[24:27], s[4:5], 0x0
	s_load_dwordx2 s[2:3], s[4:5], 0x30
	s_mov_b64 s[10:11], 0
	s_mov_b64 s[28:29], 0
	s_waitcnt lgkmcnt(0)
	s_cmp_lt_i32 s6, s26
	s_cselect_b64 s[34:35], -1, 0
	s_cmp_ge_i32 s6, s26
	s_cbranch_scc0 .LBB10_6
; %bb.4:
	s_andn2_b64 vcc, exec, s[34:35]
	s_cbranch_vccz .LBB10_7
.LBB10_5:
	s_load_dword s33, s[4:5], 0x48
	s_waitcnt lgkmcnt(0)
	s_cmp_lt_i32 s33, 1
	s_cbranch_scc0 .LBB10_8
	s_branch .LBB10_51
.LBB10_6:
	s_ashr_i32 s7, s6, 31
	s_lshl_b64 s[12:13], s[6:7], 3
	s_add_u32 s12, s2, s12
	s_addc_u32 s13, s3, s13
	s_load_dwordx2 s[12:13], s[12:13], 0x0
	s_waitcnt lgkmcnt(0)
	s_sub_u32 s28, s12, s9
	s_subb_u32 s29, s13, 0
	s_andn2_b64 vcc, exec, s[34:35]
	s_cbranch_vccnz .LBB10_5
.LBB10_7:
	s_ashr_i32 s7, s6, 31
	s_lshl_b64 s[10:11], s[6:7], 3
	s_add_u32 s2, s2, s10
	s_addc_u32 s3, s3, s11
	s_load_dwordx2 s[2:3], s[2:3], 0x8
	s_waitcnt lgkmcnt(0)
	s_sub_u32 s10, s2, s9
	s_subb_u32 s11, s3, 0
	s_load_dword s33, s[4:5], 0x48
	s_waitcnt lgkmcnt(0)
	s_cmp_lt_i32 s33, 1
	s_cbranch_scc1 .LBB10_51
.LBB10_8:
	s_load_dwordx4 s[12:15], s[4:5], 0x78
	s_load_dwordx4 s[16:19], s[4:5], 0x38
	;; [unrolled: 1-line block ×3, first 2 shown]
	v_lshl_add_u32 v10, s0, 5, v1
	v_ashrrev_i32_e32 v11, 31, v10
	v_lshlrev_b64 v[14:15], 4, v[10:11]
	s_bitcmp1_b32 s24, 0
	s_cselect_b64 s[2:3], -1, 0
	s_waitcnt lgkmcnt(0)
	v_mov_b32_e32 v19, s21
	v_add_co_u32_e32 v22, vcc, s20, v14
	s_xor_b64 s[30:31], s[2:3], -1
	v_mad_u64_u32 v[16:17], s[2:3], s22, v10, 0
	v_addc_co_u32_e32 v23, vcc, v19, v15, vcc
	v_mul_lo_u32 v20, s22, v11
	v_mul_lo_u32 v25, s23, v10
	v_cmp_neq_f64_e32 vcc, 0, v[6:7]
	v_cmp_neq_f64_e64 s[2:3], 0, v[8:9]
	s_cmp_lg_u32 s25, 0
	v_add3_u32 v17, v17, v20, v25
	v_lshlrev_b64 v[16:17], 4, v[16:17]
	s_mul_i32 s42, s33, s6
	v_add_co_u32_e64 v25, s[4:5], s20, v16
	v_cmp_gt_i32_e64 s[0:1], s27, v10
	v_addc_co_u32_e64 v26, s[4:5], v19, v17, s[4:5]
	s_cselect_b64 s[6:7], -1, 0
	s_or_b64 s[24:25], vcc, s[2:3]
	v_mul_lo_u32 v17, s14, v11
	v_mul_lo_u32 v19, s15, v10
	v_mad_u64_u32 v[10:11], s[2:3], s14, v10, 0
	v_mov_b32_e32 v16, s13
	v_add_co_u32_e32 v27, vcc, s12, v14
	v_add3_u32 v11, v11, v17, v19
	v_lshlrev_b64 v[10:11], 4, v[10:11]
	v_addc_co_u32_e32 v28, vcc, v16, v15, vcc
	v_mov_b32_e32 v13, s11
	v_mov_b32_e32 v14, s13
	v_add_co_u32_e32 v29, vcc, s12, v10
	v_mov_b32_e32 v12, s10
	v_addc_co_u32_e32 v30, vcc, v14, v11, vcc
	v_cmp_lt_i64_e32 vcc, s[28:29], v[12:13]
	v_lshlrev_b32_e32 v21, 4, v0
	s_and_b64 s[20:21], s[34:35], s[0:1]
	v_or_b32_e32 v18, 0x4000, v21
	v_lshlrev_b32_e32 v24, 9, v1
	s_cmp_lg_u32 s8, 1
	v_cndmask_b32_e64 v10, 0, 1, vcc
	s_mov_b32 s43, 0
	s_mul_i32 s44, s33, s33
	s_cselect_b64 s[26:27], -1, 0
	v_cmp_ne_u32_e64 s[2:3], 1, v10
	v_add_u32_e32 v31, v18, v24
	s_branch .LBB10_10
.LBB10_9:                               ;   in Loop: Header=BB10_10 Depth=1
	s_or_b64 exec, exec, s[4:5]
	s_add_i32 s43, s43, 32
	s_cmp_lt_i32 s43, s33
	s_cbranch_scc0 .LBB10_51
.LBB10_10:                              ; =>This Loop Header: Depth=1
                                        ;     Child Loop BB10_13 Depth 2
                                        ;       Child Loop BB10_15 Depth 3
	v_add_u32_e32 v32, s43, v0
	v_mov_b32_e32 v14, 0
	v_mov_b32_e32 v16, 0
	;; [unrolled: 1-line block ×3, first 2 shown]
	s_and_b64 vcc, exec, s[2:3]
	v_mov_b32_e32 v17, 0
	v_cmp_gt_i32_e64 s[4:5], s33, v32
	s_cbranch_vccnz .LBB10_40
; %bb.11:                               ;   in Loop: Header=BB10_10 Depth=1
	v_mul_lo_u32 v33, v32, s33
	v_mov_b32_e32 v14, 0
	v_mov_b32_e32 v16, 0
	;; [unrolled: 1-line block ×4, first 2 shown]
	s_mov_b64 s[12:13], s[28:29]
	s_branch .LBB10_13
.LBB10_12:                              ;   in Loop: Header=BB10_13 Depth=2
	s_add_u32 s12, s12, 1
	v_mov_b32_e32 v10, s10
	s_addc_u32 s13, s13, 0
	v_mov_b32_e32 v11, s11
	v_cmp_ge_i64_e32 vcc, s[12:13], v[10:11]
	s_cbranch_vccnz .LBB10_40
.LBB10_13:                              ;   Parent Loop BB10_10 Depth=1
                                        ; =>  This Loop Header: Depth=2
                                        ;       Child Loop BB10_15 Depth 3
	s_lshl_b64 s[34:35], s[12:13], 2
	s_add_u32 s34, s16, s34
	s_addc_u32 s35, s17, s35
	s_load_dword s8, s[34:35], 0x0
	s_mul_i32 s35, s13, s44
	s_mul_hi_u32 s36, s12, s44
	s_mul_i32 s34, s12, s44
	s_add_i32 s35, s36, s35
	s_waitcnt lgkmcnt(0)
	s_sub_i32 s8, s8, s9
	s_lshl_b64 s[34:35], s[34:35], 4
	s_mul_i32 s36, s8, s33
	s_add_u32 s8, s18, s34
	s_addc_u32 s45, s19, s35
	v_add_u32_e32 v34, s36, v0
	s_mov_b32 s46, 0
	s_branch .LBB10_15
.LBB10_14:                              ;   in Loop: Header=BB10_15 Depth=3
	s_or_b64 exec, exec, s[34:35]
	v_add_u32_e32 v18, v21, v24
	s_waitcnt vmcnt(0)
	ds_write_b128 v18, v[10:13]
	s_waitcnt lgkmcnt(0)
	s_barrier
	ds_read_b128 v[10:13], v21
	ds_read_b128 v[35:38], v24 offset:16384
	ds_read_b128 v[39:42], v24 offset:16400
	;; [unrolled: 1-line block ×3, first 2 shown]
	s_add_i32 s46, s46, 32
	s_cmp_ge_i32 s46, s33
	s_waitcnt lgkmcnt(2)
	v_fma_f64 v[16:17], v[10:11], v[35:36], v[16:17]
	v_fma_f64 v[14:15], v[12:13], v[35:36], v[14:15]
	v_fma_f64 v[12:13], -v[12:13], v[37:38], v[16:17]
	v_fma_f64 v[10:11], v[10:11], v[37:38], v[14:15]
	s_waitcnt lgkmcnt(0)
	v_fma_f64 v[12:13], v[43:44], v[39:40], v[12:13]
	v_fma_f64 v[10:11], v[45:46], v[39:40], v[10:11]
	v_fma_f64 v[18:19], -v[45:46], v[41:42], v[12:13]
	v_fma_f64 v[43:44], v[43:44], v[41:42], v[10:11]
	ds_read_b128 v[10:13], v21 offset:1024
	ds_read_b128 v[14:17], v24 offset:16416
	ds_read_b128 v[35:38], v24 offset:16432
	ds_read_b128 v[39:42], v21 offset:1536
	s_waitcnt lgkmcnt(2)
	v_fma_f64 v[18:19], v[10:11], v[14:15], v[18:19]
	v_fma_f64 v[14:15], v[12:13], v[14:15], v[43:44]
	v_fma_f64 v[12:13], -v[12:13], v[16:17], v[18:19]
	v_fma_f64 v[10:11], v[10:11], v[16:17], v[14:15]
	s_waitcnt lgkmcnt(0)
	v_fma_f64 v[12:13], v[39:40], v[35:36], v[12:13]
	v_fma_f64 v[10:11], v[41:42], v[35:36], v[10:11]
	v_fma_f64 v[18:19], -v[41:42], v[37:38], v[12:13]
	v_fma_f64 v[43:44], v[39:40], v[37:38], v[10:11]
	ds_read_b128 v[10:13], v24 offset:16448
	ds_read_b128 v[14:17], v21 offset:2048
	ds_read_b128 v[35:38], v21 offset:2560
	ds_read_b128 v[39:42], v24 offset:16464
	;; [unrolled: 14-line block ×15, first 2 shown]
	s_waitcnt lgkmcnt(0)
	s_barrier
	v_fma_f64 v[18:19], v[14:15], v[10:11], v[18:19]
	v_fma_f64 v[10:11], v[16:17], v[10:11], v[43:44]
	v_fma_f64 v[16:17], -v[16:17], v[12:13], v[18:19]
	v_fma_f64 v[10:11], v[14:15], v[12:13], v[10:11]
	v_fma_f64 v[12:13], v[35:36], v[39:40], v[16:17]
	;; [unrolled: 1-line block ×3, first 2 shown]
	v_fma_f64 v[16:17], -v[37:38], v[41:42], v[12:13]
	v_fma_f64 v[14:15], v[35:36], v[41:42], v[10:11]
	s_cbranch_scc1 .LBB10_12
.LBB10_15:                              ;   Parent Loop BB10_10 Depth=1
                                        ;     Parent Loop BB10_13 Depth=2
                                        ; =>    This Inner Loop Header: Depth=3
	s_and_b64 vcc, exec, s[30:31]
	s_cbranch_vccz .LBB10_21
; %bb.16:                               ;   in Loop: Header=BB10_15 Depth=3
	s_mov_b64 s[36:37], 0
	s_mov_b64 s[34:35], 0
                                        ; implicit-def: $vgpr18_vgpr19
	s_and_saveexec_b64 s[38:39], s[0:1]
	s_cbranch_execz .LBB10_20
; %bb.17:                               ;   in Loop: Header=BB10_15 Depth=3
	v_add_u32_e32 v10, s46, v0
	v_cmp_gt_i32_e32 vcc, s33, v10
                                        ; implicit-def: $vgpr18_vgpr19
	s_and_saveexec_b64 s[40:41], vcc
	s_xor_b64 s[40:41], exec, s[40:41]
	s_cbranch_execz .LBB10_19
; %bb.18:                               ;   in Loop: Header=BB10_15 Depth=3
	v_add_u32_e32 v10, s46, v34
	v_ashrrev_i32_e32 v11, 31, v10
	v_mul_lo_u32 v12, s22, v11
	v_mul_lo_u32 v13, s23, v10
	v_mad_u64_u32 v[10:11], s[48:49], s22, v10, 0
	s_mov_b64 s[34:35], exec
	v_add3_u32 v11, v11, v12, v13
	v_lshlrev_b64 v[10:11], 4, v[10:11]
	v_add_co_u32_e32 v18, vcc, v22, v10
	v_addc_co_u32_e32 v19, vcc, v23, v11, vcc
.LBB10_19:                              ;   in Loop: Header=BB10_15 Depth=3
	s_or_b64 exec, exec, s[40:41]
	s_and_b64 s[34:35], s[34:35], exec
.LBB10_20:                              ;   in Loop: Header=BB10_15 Depth=3
	s_or_b64 exec, exec, s[38:39]
	s_and_b64 vcc, exec, s[36:37]
	s_cbranch_vccnz .LBB10_22
	s_branch .LBB10_27
.LBB10_21:                              ;   in Loop: Header=BB10_15 Depth=3
	s_mov_b64 s[34:35], 0
                                        ; implicit-def: $vgpr18_vgpr19
	s_cbranch_execz .LBB10_27
.LBB10_22:                              ;   in Loop: Header=BB10_15 Depth=3
                                        ; implicit-def: $vgpr18_vgpr19
	s_and_saveexec_b64 s[36:37], s[0:1]
	s_cbranch_execz .LBB10_26
; %bb.23:                               ;   in Loop: Header=BB10_15 Depth=3
	v_add_u32_e32 v10, s46, v0
	v_cmp_gt_i32_e32 vcc, s33, v10
	s_mov_b64 s[40:41], s[34:35]
                                        ; implicit-def: $vgpr18_vgpr19
	s_and_saveexec_b64 s[38:39], vcc
; %bb.24:                               ;   in Loop: Header=BB10_15 Depth=3
	v_add_u32_e32 v10, s46, v34
	v_ashrrev_i32_e32 v11, 31, v10
	v_lshlrev_b64 v[10:11], 4, v[10:11]
	s_or_b64 s[40:41], s[34:35], exec
	v_add_co_u32_e32 v18, vcc, v25, v10
	v_addc_co_u32_e32 v19, vcc, v26, v11, vcc
; %bb.25:                               ;   in Loop: Header=BB10_15 Depth=3
	s_or_b64 exec, exec, s[38:39]
	s_andn2_b64 s[34:35], s[34:35], exec
	s_and_b64 s[38:39], s[40:41], exec
	s_or_b64 s[34:35], s[34:35], s[38:39]
.LBB10_26:                              ;   in Loop: Header=BB10_15 Depth=3
	s_or_b64 exec, exec, s[36:37]
.LBB10_27:                              ;   in Loop: Header=BB10_15 Depth=3
	v_mov_b32_e32 v10, 0
	v_mov_b32_e32 v12, 0
	;; [unrolled: 1-line block ×4, first 2 shown]
	s_and_saveexec_b64 s[36:37], s[34:35]
	s_cbranch_execz .LBB10_29
; %bb.28:                               ;   in Loop: Header=BB10_15 Depth=3
	global_load_dwordx4 v[10:13], v[18:19], off
.LBB10_29:                              ;   in Loop: Header=BB10_15 Depth=3
	s_or_b64 exec, exec, s[36:37]
	s_and_b64 vcc, exec, s[6:7]
	s_waitcnt vmcnt(0)
	ds_write_b128 v31, v[10:13]
	s_cbranch_vccz .LBB10_36
; %bb.30:                               ;   in Loop: Header=BB10_15 Depth=3
	s_mov_b64 s[34:35], 0
	s_mov_b64 s[36:37], 0
                                        ; implicit-def: $vgpr18
	s_and_saveexec_b64 s[38:39], s[4:5]
	s_cbranch_execz .LBB10_34
; %bb.31:                               ;   in Loop: Header=BB10_15 Depth=3
	v_add_u32_e32 v10, s46, v1
	v_cmp_gt_i32_e32 vcc, s33, v10
                                        ; implicit-def: $vgpr18
	s_and_saveexec_b64 s[40:41], vcc
	s_xor_b64 s[40:41], exec, s[40:41]
; %bb.32:                               ;   in Loop: Header=BB10_15 Depth=3
	s_mov_b64 s[36:37], exec
	v_mul_lo_u32 v18, v10, s33
; %bb.33:                               ;   in Loop: Header=BB10_15 Depth=3
	s_or_b64 exec, exec, s[40:41]
	s_and_b64 s[36:37], s[36:37], exec
.LBB10_34:                              ;   in Loop: Header=BB10_15 Depth=3
	s_or_b64 exec, exec, s[38:39]
	s_and_b64 vcc, exec, s[34:35]
	s_cbranch_vccz .LBB10_37
.LBB10_35:                              ;   in Loop: Header=BB10_15 Depth=3
	v_add_u32_e32 v18, s46, v1
	v_cmp_gt_i32_e32 vcc, s33, v18
	s_and_b64 s[34:35], s[4:5], vcc
	s_andn2_b64 s[36:37], s[36:37], exec
	s_and_b64 s[34:35], s[34:35], exec
	s_or_b64 s[36:37], s[36:37], s[34:35]
	v_mov_b32_e32 v19, v33
	s_branch .LBB10_38
.LBB10_36:                              ;   in Loop: Header=BB10_15 Depth=3
	s_mov_b64 s[36:37], 0
                                        ; implicit-def: $vgpr18
	s_cbranch_execnz .LBB10_35
.LBB10_37:                              ;   in Loop: Header=BB10_15 Depth=3
	v_mov_b32_e32 v19, v32
.LBB10_38:                              ;   in Loop: Header=BB10_15 Depth=3
	v_mov_b32_e32 v10, 0
	v_mov_b32_e32 v12, 0
	;; [unrolled: 1-line block ×4, first 2 shown]
	s_and_saveexec_b64 s[34:35], s[36:37]
	s_cbranch_execz .LBB10_14
; %bb.39:                               ;   in Loop: Header=BB10_15 Depth=3
	v_ashrrev_i32_e32 v20, 31, v19
	v_lshlrev_b64 v[10:11], 4, v[19:20]
	v_mov_b32_e32 v12, s45
	v_add_co_u32_e32 v13, vcc, s8, v10
	v_ashrrev_i32_e32 v19, 31, v18
	v_addc_co_u32_e32 v12, vcc, v12, v11, vcc
	v_lshlrev_b64 v[10:11], 4, v[18:19]
	v_add_co_u32_e32 v10, vcc, v13, v10
	v_addc_co_u32_e32 v11, vcc, v12, v11, vcc
	global_load_dwordx4 v[10:13], v[10:11], off
	s_branch .LBB10_14
.LBB10_40:                              ;   in Loop: Header=BB10_10 Depth=1
	v_cmp_gt_i32_e32 vcc, s33, v32
	s_and_b64 s[12:13], s[20:21], vcc
	s_and_saveexec_b64 s[4:5], s[12:13]
	s_cbranch_execz .LBB10_9
; %bb.41:                               ;   in Loop: Header=BB10_10 Depth=1
	v_add_u32_e32 v18, s42, v32
	v_ashrrev_i32_e32 v19, 31, v18
	s_and_saveexec_b64 s[12:13], s[24:25]
	s_xor_b64 s[12:13], exec, s[12:13]
	s_cbranch_execz .LBB10_46
; %bb.42:                               ;   in Loop: Header=BB10_10 Depth=1
	s_mov_b64 s[34:35], -1
	s_and_b64 vcc, exec, s[26:27]
	s_cbranch_vccz .LBB10_44
; %bb.43:                               ;   in Loop: Header=BB10_10 Depth=1
	v_mul_lo_u32 v12, s15, v18
	v_mul_lo_u32 v13, s14, v19
	v_mad_u64_u32 v[10:11], s[34:35], s14, v18, 0
	v_mul_f64 v[34:35], v[14:15], -v[4:5]
	v_mul_f64 v[36:37], v[2:3], v[14:15]
	v_add3_u32 v11, v11, v13, v12
	v_lshlrev_b64 v[10:11], 4, v[10:11]
	s_mov_b64 s[34:35], 0
	v_add_co_u32_e32 v32, vcc, v27, v10
	v_addc_co_u32_e32 v33, vcc, v28, v11, vcc
	global_load_dwordx4 v[10:13], v[32:33], off
	v_fma_f64 v[34:35], v[2:3], v[16:17], v[34:35]
	v_fma_f64 v[36:37], v[4:5], v[16:17], v[36:37]
	s_waitcnt vmcnt(0)
	v_fma_f64 v[34:35], v[6:7], v[10:11], v[34:35]
	v_fma_f64 v[36:37], v[8:9], v[10:11], v[36:37]
	v_fma_f64 v[10:11], -v[8:9], v[12:13], v[34:35]
	v_fma_f64 v[12:13], v[6:7], v[12:13], v[36:37]
	global_store_dwordx4 v[32:33], v[10:13], off
.LBB10_44:                              ;   in Loop: Header=BB10_10 Depth=1
	s_andn2_b64 vcc, exec, s[34:35]
	s_cbranch_vccnz .LBB10_46
; %bb.45:                               ;   in Loop: Header=BB10_10 Depth=1
	v_lshlrev_b64 v[10:11], 4, v[18:19]
	v_mul_f64 v[32:33], v[14:15], -v[4:5]
	v_add_co_u32_e32 v18, vcc, v29, v10
	v_addc_co_u32_e32 v19, vcc, v30, v11, vcc
	global_load_dwordx4 v[10:13], v[18:19], off
	v_mul_f64 v[14:15], v[2:3], v[14:15]
	v_fma_f64 v[32:33], v[2:3], v[16:17], v[32:33]
	v_fma_f64 v[14:15], v[4:5], v[16:17], v[14:15]
	s_waitcnt vmcnt(0)
	v_fma_f64 v[16:17], v[6:7], v[10:11], v[32:33]
	v_fma_f64 v[14:15], v[8:9], v[10:11], v[14:15]
	v_fma_f64 v[10:11], -v[8:9], v[12:13], v[16:17]
	v_fma_f64 v[12:13], v[6:7], v[12:13], v[14:15]
                                        ; implicit-def: $vgpr14_vgpr15
                                        ; implicit-def: $vgpr16_vgpr17
	global_store_dwordx4 v[18:19], v[10:13], off
                                        ; implicit-def: $vgpr18
.LBB10_46:                              ;   in Loop: Header=BB10_10 Depth=1
	s_andn2_saveexec_b64 s[12:13], s[12:13]
	s_cbranch_execz .LBB10_9
; %bb.47:                               ;   in Loop: Header=BB10_10 Depth=1
	v_mul_f64 v[10:11], v[14:15], -v[4:5]
	v_mul_f64 v[12:13], v[2:3], v[14:15]
	s_mov_b64 s[12:13], -1
	s_and_b64 vcc, exec, s[26:27]
	v_fma_f64 v[10:11], v[2:3], v[16:17], v[10:11]
	v_fma_f64 v[12:13], v[4:5], v[16:17], v[12:13]
	s_cbranch_vccz .LBB10_49
; %bb.48:                               ;   in Loop: Header=BB10_10 Depth=1
	v_mul_lo_u32 v16, s15, v18
	v_mul_lo_u32 v17, s14, v19
	v_mad_u64_u32 v[14:15], s[12:13], s14, v18, 0
	s_mov_b64 s[12:13], 0
	v_add3_u32 v15, v15, v17, v16
	v_lshlrev_b64 v[14:15], 4, v[14:15]
	v_add_co_u32_e32 v14, vcc, v27, v14
	v_addc_co_u32_e32 v15, vcc, v28, v15, vcc
	global_store_dwordx4 v[14:15], v[10:13], off
.LBB10_49:                              ;   in Loop: Header=BB10_10 Depth=1
	s_andn2_b64 vcc, exec, s[12:13]
	s_cbranch_vccnz .LBB10_9
; %bb.50:                               ;   in Loop: Header=BB10_10 Depth=1
	v_lshlrev_b64 v[14:15], 4, v[18:19]
	v_add_co_u32_e32 v14, vcc, v29, v14
	v_addc_co_u32_e32 v15, vcc, v30, v15, vcc
	global_store_dwordx4 v[14:15], v[10:13], off
	s_branch .LBB10_9
.LBB10_51:
	s_endpgm
	.section	.rodata,"a",@progbits
	.p2align	6, 0x0
	.amdhsa_kernel _ZN9rocsparseL29bsrmm_general_blockdim_kernelILj32ELj32Eli21rocsparse_complex_numIdES2_S2_S2_EEvb20rocsparse_direction_T2_S4_llNS_24const_host_device_scalarIT6_EEPKT1_PKS4_PKT3_S4_PKT4_llS7_PT5_ll16rocsparse_order_21rocsparse_index_base_b
		.amdhsa_group_segment_fixed_size 32768
		.amdhsa_private_segment_fixed_size 0
		.amdhsa_kernarg_size 156
		.amdhsa_user_sgpr_count 6
		.amdhsa_user_sgpr_private_segment_buffer 1
		.amdhsa_user_sgpr_dispatch_ptr 0
		.amdhsa_user_sgpr_queue_ptr 0
		.amdhsa_user_sgpr_kernarg_segment_ptr 1
		.amdhsa_user_sgpr_dispatch_id 0
		.amdhsa_user_sgpr_flat_scratch_init 0
		.amdhsa_user_sgpr_private_segment_size 0
		.amdhsa_uses_dynamic_stack 0
		.amdhsa_system_sgpr_private_segment_wavefront_offset 0
		.amdhsa_system_sgpr_workgroup_id_x 1
		.amdhsa_system_sgpr_workgroup_id_y 1
		.amdhsa_system_sgpr_workgroup_id_z 0
		.amdhsa_system_sgpr_workgroup_info 0
		.amdhsa_system_vgpr_workitem_id 1
		.amdhsa_next_free_vgpr 47
		.amdhsa_next_free_sgpr 61
		.amdhsa_reserve_vcc 1
		.amdhsa_reserve_flat_scratch 0
		.amdhsa_float_round_mode_32 0
		.amdhsa_float_round_mode_16_64 0
		.amdhsa_float_denorm_mode_32 3
		.amdhsa_float_denorm_mode_16_64 3
		.amdhsa_dx10_clamp 1
		.amdhsa_ieee_mode 1
		.amdhsa_fp16_overflow 0
		.amdhsa_exception_fp_ieee_invalid_op 0
		.amdhsa_exception_fp_denorm_src 0
		.amdhsa_exception_fp_ieee_div_zero 0
		.amdhsa_exception_fp_ieee_overflow 0
		.amdhsa_exception_fp_ieee_underflow 0
		.amdhsa_exception_fp_ieee_inexact 0
		.amdhsa_exception_int_div_zero 0
	.end_amdhsa_kernel
	.section	.text._ZN9rocsparseL29bsrmm_general_blockdim_kernelILj32ELj32Eli21rocsparse_complex_numIdES2_S2_S2_EEvb20rocsparse_direction_T2_S4_llNS_24const_host_device_scalarIT6_EEPKT1_PKS4_PKT3_S4_PKT4_llS7_PT5_ll16rocsparse_order_21rocsparse_index_base_b,"axG",@progbits,_ZN9rocsparseL29bsrmm_general_blockdim_kernelILj32ELj32Eli21rocsparse_complex_numIdES2_S2_S2_EEvb20rocsparse_direction_T2_S4_llNS_24const_host_device_scalarIT6_EEPKT1_PKS4_PKT3_S4_PKT4_llS7_PT5_ll16rocsparse_order_21rocsparse_index_base_b,comdat
.Lfunc_end10:
	.size	_ZN9rocsparseL29bsrmm_general_blockdim_kernelILj32ELj32Eli21rocsparse_complex_numIdES2_S2_S2_EEvb20rocsparse_direction_T2_S4_llNS_24const_host_device_scalarIT6_EEPKT1_PKS4_PKT3_S4_PKT4_llS7_PT5_ll16rocsparse_order_21rocsparse_index_base_b, .Lfunc_end10-_ZN9rocsparseL29bsrmm_general_blockdim_kernelILj32ELj32Eli21rocsparse_complex_numIdES2_S2_S2_EEvb20rocsparse_direction_T2_S4_llNS_24const_host_device_scalarIT6_EEPKT1_PKS4_PKT3_S4_PKT4_llS7_PT5_ll16rocsparse_order_21rocsparse_index_base_b
                                        ; -- End function
	.set _ZN9rocsparseL29bsrmm_general_blockdim_kernelILj32ELj32Eli21rocsparse_complex_numIdES2_S2_S2_EEvb20rocsparse_direction_T2_S4_llNS_24const_host_device_scalarIT6_EEPKT1_PKS4_PKT3_S4_PKT4_llS7_PT5_ll16rocsparse_order_21rocsparse_index_base_b.num_vgpr, 47
	.set _ZN9rocsparseL29bsrmm_general_blockdim_kernelILj32ELj32Eli21rocsparse_complex_numIdES2_S2_S2_EEvb20rocsparse_direction_T2_S4_llNS_24const_host_device_scalarIT6_EEPKT1_PKS4_PKT3_S4_PKT4_llS7_PT5_ll16rocsparse_order_21rocsparse_index_base_b.num_agpr, 0
	.set _ZN9rocsparseL29bsrmm_general_blockdim_kernelILj32ELj32Eli21rocsparse_complex_numIdES2_S2_S2_EEvb20rocsparse_direction_T2_S4_llNS_24const_host_device_scalarIT6_EEPKT1_PKS4_PKT3_S4_PKT4_llS7_PT5_ll16rocsparse_order_21rocsparse_index_base_b.numbered_sgpr, 50
	.set _ZN9rocsparseL29bsrmm_general_blockdim_kernelILj32ELj32Eli21rocsparse_complex_numIdES2_S2_S2_EEvb20rocsparse_direction_T2_S4_llNS_24const_host_device_scalarIT6_EEPKT1_PKS4_PKT3_S4_PKT4_llS7_PT5_ll16rocsparse_order_21rocsparse_index_base_b.num_named_barrier, 0
	.set _ZN9rocsparseL29bsrmm_general_blockdim_kernelILj32ELj32Eli21rocsparse_complex_numIdES2_S2_S2_EEvb20rocsparse_direction_T2_S4_llNS_24const_host_device_scalarIT6_EEPKT1_PKS4_PKT3_S4_PKT4_llS7_PT5_ll16rocsparse_order_21rocsparse_index_base_b.private_seg_size, 0
	.set _ZN9rocsparseL29bsrmm_general_blockdim_kernelILj32ELj32Eli21rocsparse_complex_numIdES2_S2_S2_EEvb20rocsparse_direction_T2_S4_llNS_24const_host_device_scalarIT6_EEPKT1_PKS4_PKT3_S4_PKT4_llS7_PT5_ll16rocsparse_order_21rocsparse_index_base_b.uses_vcc, 1
	.set _ZN9rocsparseL29bsrmm_general_blockdim_kernelILj32ELj32Eli21rocsparse_complex_numIdES2_S2_S2_EEvb20rocsparse_direction_T2_S4_llNS_24const_host_device_scalarIT6_EEPKT1_PKS4_PKT3_S4_PKT4_llS7_PT5_ll16rocsparse_order_21rocsparse_index_base_b.uses_flat_scratch, 0
	.set _ZN9rocsparseL29bsrmm_general_blockdim_kernelILj32ELj32Eli21rocsparse_complex_numIdES2_S2_S2_EEvb20rocsparse_direction_T2_S4_llNS_24const_host_device_scalarIT6_EEPKT1_PKS4_PKT3_S4_PKT4_llS7_PT5_ll16rocsparse_order_21rocsparse_index_base_b.has_dyn_sized_stack, 0
	.set _ZN9rocsparseL29bsrmm_general_blockdim_kernelILj32ELj32Eli21rocsparse_complex_numIdES2_S2_S2_EEvb20rocsparse_direction_T2_S4_llNS_24const_host_device_scalarIT6_EEPKT1_PKS4_PKT3_S4_PKT4_llS7_PT5_ll16rocsparse_order_21rocsparse_index_base_b.has_recursion, 0
	.set _ZN9rocsparseL29bsrmm_general_blockdim_kernelILj32ELj32Eli21rocsparse_complex_numIdES2_S2_S2_EEvb20rocsparse_direction_T2_S4_llNS_24const_host_device_scalarIT6_EEPKT1_PKS4_PKT3_S4_PKT4_llS7_PT5_ll16rocsparse_order_21rocsparse_index_base_b.has_indirect_call, 0
	.section	.AMDGPU.csdata,"",@progbits
; Kernel info:
; codeLenInByte = 3432
; TotalNumSgprs: 54
; NumVgprs: 47
; ScratchSize: 0
; MemoryBound: 1
; FloatMode: 240
; IeeeMode: 1
; LDSByteSize: 32768 bytes/workgroup (compile time only)
; SGPRBlocks: 8
; VGPRBlocks: 11
; NumSGPRsForWavesPerEU: 65
; NumVGPRsForWavesPerEU: 47
; Occupancy: 5
; WaveLimiterHint : 0
; COMPUTE_PGM_RSRC2:SCRATCH_EN: 0
; COMPUTE_PGM_RSRC2:USER_SGPR: 6
; COMPUTE_PGM_RSRC2:TRAP_HANDLER: 0
; COMPUTE_PGM_RSRC2:TGID_X_EN: 1
; COMPUTE_PGM_RSRC2:TGID_Y_EN: 1
; COMPUTE_PGM_RSRC2:TGID_Z_EN: 0
; COMPUTE_PGM_RSRC2:TIDIG_COMP_CNT: 1
	.section	.text._ZN9rocsparseL29bsrmm_general_blockdim_kernelILj32ELj32Ell21rocsparse_complex_numIdES2_S2_S2_EEvb20rocsparse_direction_T2_S4_llNS_24const_host_device_scalarIT6_EEPKT1_PKS4_PKT3_S4_PKT4_llS7_PT5_ll16rocsparse_order_21rocsparse_index_base_b,"axG",@progbits,_ZN9rocsparseL29bsrmm_general_blockdim_kernelILj32ELj32Ell21rocsparse_complex_numIdES2_S2_S2_EEvb20rocsparse_direction_T2_S4_llNS_24const_host_device_scalarIT6_EEPKT1_PKS4_PKT3_S4_PKT4_llS7_PT5_ll16rocsparse_order_21rocsparse_index_base_b,comdat
	.globl	_ZN9rocsparseL29bsrmm_general_blockdim_kernelILj32ELj32Ell21rocsparse_complex_numIdES2_S2_S2_EEvb20rocsparse_direction_T2_S4_llNS_24const_host_device_scalarIT6_EEPKT1_PKS4_PKT3_S4_PKT4_llS7_PT5_ll16rocsparse_order_21rocsparse_index_base_b ; -- Begin function _ZN9rocsparseL29bsrmm_general_blockdim_kernelILj32ELj32Ell21rocsparse_complex_numIdES2_S2_S2_EEvb20rocsparse_direction_T2_S4_llNS_24const_host_device_scalarIT6_EEPKT1_PKS4_PKT3_S4_PKT4_llS7_PT5_ll16rocsparse_order_21rocsparse_index_base_b
	.p2align	8
	.type	_ZN9rocsparseL29bsrmm_general_blockdim_kernelILj32ELj32Ell21rocsparse_complex_numIdES2_S2_S2_EEvb20rocsparse_direction_T2_S4_llNS_24const_host_device_scalarIT6_EEPKT1_PKS4_PKT3_S4_PKT4_llS7_PT5_ll16rocsparse_order_21rocsparse_index_base_b,@function
_ZN9rocsparseL29bsrmm_general_blockdim_kernelILj32ELj32Ell21rocsparse_complex_numIdES2_S2_S2_EEvb20rocsparse_direction_T2_S4_llNS_24const_host_device_scalarIT6_EEPKT1_PKS4_PKT3_S4_PKT4_llS7_PT5_ll16rocsparse_order_21rocsparse_index_base_b: ; @_ZN9rocsparseL29bsrmm_general_blockdim_kernelILj32ELj32Ell21rocsparse_complex_numIdES2_S2_S2_EEvb20rocsparse_direction_T2_S4_llNS_24const_host_device_scalarIT6_EEPKT1_PKS4_PKT3_S4_PKT4_llS7_PT5_ll16rocsparse_order_21rocsparse_index_base_b
; %bb.0:
	s_load_dwordx2 s[2:3], s[4:5], 0x28
	s_load_dwordx4 s[20:23], s[4:5], 0x98
	s_add_u32 s1, s4, 40
	s_mov_b32 s0, s7
	s_addc_u32 s7, s5, 0
	s_add_u32 s10, s4, 0x70
	s_addc_u32 s11, s5, 0
	s_waitcnt lgkmcnt(0)
	s_bitcmp1_b32 s22, 0
	s_cselect_b32 s3, s7, s3
	s_cselect_b32 s1, s1, s2
	v_mov_b32_e32 v2, s1
	v_mov_b32_e32 v3, s3
	flat_load_dwordx4 v[2:5], v[2:3]
	s_load_dwordx2 s[8:9], s[4:5], 0x70
	s_waitcnt lgkmcnt(0)
	s_cselect_b32 s1, s11, s9
	s_cselect_b32 s2, s10, s8
	v_mov_b32_e32 v6, s2
	v_mov_b32_e32 v7, s1
	flat_load_dwordx4 v[6:9], v[6:7]
	s_waitcnt vmcnt(0)
	v_cmp_eq_f64_e32 vcc, 0, v[2:3]
	v_cmp_eq_f64_e64 s[2:3], 0, v[4:5]
	s_and_b64 s[10:11], vcc, s[2:3]
	s_mov_b64 s[2:3], -1
	s_and_saveexec_b64 s[8:9], s[10:11]
	s_cbranch_execz .LBB11_2
; %bb.1:
	s_waitcnt lgkmcnt(0)
	v_cmp_neq_f64_e32 vcc, 1.0, v[6:7]
	v_cmp_neq_f64_e64 s[2:3], 0, v[8:9]
	s_or_b64 s[2:3], vcc, s[2:3]
	s_orn2_b64 s[2:3], s[2:3], exec
.LBB11_2:
	s_or_b64 exec, exec, s[8:9]
	s_and_saveexec_b64 s[8:9], s[2:3]
	s_cbranch_execz .LBB11_50
; %bb.3:
	s_load_dwordx4 s[24:27], s[4:5], 0x8
	s_load_dwordx2 s[8:9], s[4:5], 0x38
	s_ashr_i32 s7, s6, 31
	v_mov_b32_e32 v11, s7
	v_mov_b32_e32 v10, s6
	s_waitcnt lgkmcnt(0)
	v_cmp_le_i64_e32 vcc, s[24:25], v[10:11]
	v_cmp_gt_i64_e64 s[2:3], s[24:25], v[10:11]
	s_mov_b64 s[22:23], 0
	s_mov_b64 s[24:25], 0
	s_cbranch_vccz .LBB11_6
; %bb.4:
	s_andn2_b64 vcc, exec, s[2:3]
	s_cbranch_vccz .LBB11_7
.LBB11_5:
	s_load_dwordx2 s[28:29], s[4:5], 0x50
	s_waitcnt lgkmcnt(0)
	v_cmp_lt_i64_e64 s[8:9], s[28:29], 1
	s_and_b64 vcc, exec, s[8:9]
	s_cbranch_vccz .LBB11_8
	s_branch .LBB11_50
.LBB11_6:
	s_lshl_b64 s[10:11], s[6:7], 3
	s_add_u32 s10, s8, s10
	s_addc_u32 s11, s9, s11
	s_load_dwordx2 s[10:11], s[10:11], 0x0
	s_waitcnt lgkmcnt(0)
	s_sub_u32 s24, s10, s21
	s_subb_u32 s25, s11, 0
	s_andn2_b64 vcc, exec, s[2:3]
	s_cbranch_vccnz .LBB11_5
.LBB11_7:
	s_lshl_b64 s[10:11], s[6:7], 3
	s_add_u32 s8, s8, s10
	s_addc_u32 s9, s9, s11
	s_load_dwordx2 s[8:9], s[8:9], 0x8
	s_waitcnt lgkmcnt(0)
	s_sub_u32 s22, s8, s21
	s_subb_u32 s23, s9, 0
	s_load_dwordx2 s[28:29], s[4:5], 0x50
	s_waitcnt lgkmcnt(0)
	v_cmp_lt_i64_e64 s[8:9], s[28:29], 1
	s_and_b64 vcc, exec, s[8:9]
	s_cbranch_vccnz .LBB11_50
.LBB11_8:
	s_load_dwordx4 s[8:11], s[4:5], 0x80
	s_load_dwordx4 s[12:15], s[4:5], 0x58
	;; [unrolled: 1-line block ×3, first 2 shown]
	s_load_dwordx2 s[36:37], s[4:5], 0x0
	v_lshl_add_u32 v10, s0, 5, v1
	v_mov_b32_e32 v11, 0
	v_lshlrev_b64 v[12:13], 4, v[10:11]
	s_waitcnt lgkmcnt(0)
	v_mov_b32_e32 v14, s9
	s_bitcmp1_b32 s36, 0
	s_cselect_b64 s[0:1], -1, 0
	s_xor_b64 s[30:31], s[0:1], -1
	s_mul_i32 s0, s29, s6
	s_mul_hi_u32 s1, s28, s6
	s_add_i32 s33, s1, s0
	s_mul_i32 s0, s28, s29
	s_mul_hi_u32 s1, s28, s28
	v_add_co_u32_e32 v32, vcc, s8, v12
	s_add_i32 s1, s1, s0
	v_addc_co_u32_e32 v33, vcc, v14, v13, vcc
	s_add_i32 s35, s1, s0
	v_cmp_gt_i64_e64 s[0:1], s[26:27], v[10:11]
	v_mov_b32_e32 v14, s13
	v_add_co_u32_e32 v34, vcc, s12, v12
	s_cmp_lg_u32 s37, 0
	v_addc_co_u32_e32 v35, vcc, v14, v13, vcc
	s_cselect_b64 s[26:27], -1, 0
	s_and_b64 s[36:37], s[2:3], s[0:1]
	v_mad_u64_u32 v[12:13], s[2:3], s10, v10, 0
	v_cmp_neq_f64_e32 vcc, 0, v[6:7]
	v_cmp_neq_f64_e64 s[4:5], 0, v[8:9]
	v_mad_u64_u32 v[13:14], s[2:3], s11, v10, v[13:14]
	v_mad_u64_u32 v[14:15], s[2:3], s14, v10, 0
	v_lshlrev_b64 v[12:13], 4, v[12:13]
	v_mov_b32_e32 v17, s9
	v_mad_u64_u32 v[15:16], s[2:3], s15, v10, v[15:16]
	s_or_b64 s[40:41], vcc, s[4:5]
	v_add_co_u32_e32 v38, vcc, s8, v12
	s_cmp_lg_u32 s20, 1
	v_addc_co_u32_e32 v39, vcc, v17, v13, vcc
	v_lshlrev_b64 v[12:13], 4, v[14:15]
	s_mul_i32 s2, s24, s29
	s_mul_hi_u32 s3, s24, s28
	s_mov_b32 s55, s21
	v_lshlrev_b32_e32 v36, 4, v0
	s_cselect_b64 s[20:21], -1, 0
	s_add_i32 s2, s3, s2
	s_mul_i32 s3, s25, s28
	v_add_co_u32_e32 v12, vcc, v12, v36
	s_add_i32 s3, s2, s3
	s_mul_i32 s2, s24, s28
	v_addc_co_u32_e32 v13, vcc, 0, v13, vcc
	s_lshl_b64 s[2:3], s[2:3], 4
	v_mov_b32_e32 v10, s3
	v_add_co_u32_e32 v14, vcc, s2, v36
	v_addc_co_u32_e32 v16, vcc, 0, v10, vcc
	v_lshlrev_b32_e32 v10, 4, v1
	v_mul_lo_u32 v16, s28, v16
	v_mul_lo_u32 v17, s29, v14
	v_mad_u64_u32 v[10:11], s[2:3], s28, v14, v[10:11]
	v_mov_b32_e32 v15, s13
	v_add_co_u32_e32 v14, vcc, s12, v12
	v_addc_co_u32_e32 v15, vcc, v15, v13, vcc
	v_mov_b32_e32 v18, s22
	v_add3_u32 v11, v17, v11, v16
	v_mov_b32_e32 v40, s19
	v_add_co_u32_e32 v16, vcc, s18, v10
	v_mov_b32_e32 v19, s23
	v_addc_co_u32_e32 v17, vcc, v40, v11, vcc
	v_cmp_lt_i64_e32 vcc, s[24:25], v[18:19]
	s_mul_i32 s34, s28, s28
	v_or_b32_e32 v20, 0x4000, v36
	v_lshlrev_b32_e32 v37, 9, v1
	v_cndmask_b32_e64 v10, 0, 1, vcc
	s_mul_i32 s54, s28, s6
	s_mov_b64 s[38:39], 0
	s_lshl_b64 s[8:9], s[28:29], 4
	s_lshl_b64 s[12:13], s[28:29], 9
	;; [unrolled: 1-line block ×3, first 2 shown]
	v_add_u32_e32 v41, v20, v37
	v_cmp_ne_u32_e64 s[2:3], 1, v10
	s_branch .LBB11_10
.LBB11_9:                               ;   in Loop: Header=BB11_10 Depth=1
	s_or_b64 exec, exec, s[4:5]
	s_add_u32 s38, s38, 32
	v_mov_b32_e32 v10, s28
	s_addc_u32 s39, s39, 0
	v_mov_b32_e32 v11, s29
	v_cmp_lt_i64_e32 vcc, s[38:39], v[10:11]
	v_mov_b32_e32 v12, s13
	v_add_co_u32_e64 v16, s[4:5], s12, v16
	v_addc_co_u32_e64 v17, s[4:5], v17, v12, s[4:5]
	s_cbranch_vccz .LBB11_50
.LBB11_10:                              ; =>This Loop Header: Depth=1
                                        ;     Child Loop BB11_13 Depth 2
                                        ;       Child Loop BB11_15 Depth 3
	v_mov_b32_e32 v10, s39
	v_add_co_u32_e32 v18, vcc, s38, v0
	v_addc_co_u32_e32 v19, vcc, 0, v10, vcc
	v_mov_b32_e32 v26, 0
	v_cmp_gt_i64_e64 s[4:5], s[28:29], v[18:19]
	v_mov_b32_e32 v28, 0
	v_mov_b32_e32 v27, 0
	s_and_b64 vcc, exec, s[2:3]
	v_mov_b32_e32 v29, 0
	s_cbranch_vccnz .LBB11_39
; %bb.11:                               ;   in Loop: Header=BB11_10 Depth=1
	v_lshlrev_b64 v[10:11], 4, v[18:19]
	v_mov_b32_e32 v26, 0
	v_add_co_u32_e32 v42, vcc, s18, v10
	v_mov_b32_e32 v21, v17
	v_mov_b32_e32 v28, 0
	v_addc_co_u32_e32 v43, vcc, v40, v11, vcc
	v_mov_b32_e32 v27, 0
	v_mov_b32_e32 v20, v16
	;; [unrolled: 1-line block ×3, first 2 shown]
	s_mov_b64 s[44:45], s[24:25]
	s_branch .LBB11_13
.LBB11_12:                              ;   in Loop: Header=BB11_13 Depth=2
	s_add_u32 s44, s44, 1
	v_mov_b32_e32 v10, s22
	s_addc_u32 s45, s45, 0
	v_mov_b32_e32 v11, s23
	v_cmp_ge_i64_e32 vcc, s[44:45], v[10:11]
	v_mov_b32_e32 v12, s43
	v_add_co_u32_e64 v20, s[6:7], s42, v20
	v_addc_co_u32_e64 v21, s[6:7], v21, v12, s[6:7]
	s_cbranch_vccnz .LBB11_39
.LBB11_13:                              ;   Parent Loop BB11_10 Depth=1
                                        ; =>  This Loop Header: Depth=2
                                        ;       Child Loop BB11_15 Depth 3
	s_mul_i32 s6, s34, s45
	s_mul_hi_u32 s7, s34, s44
	s_add_i32 s6, s7, s6
	s_mul_i32 s7, s35, s44
	s_add_i32 s7, s6, s7
	s_lshl_b64 s[46:47], s[44:45], 3
	s_add_u32 s46, s16, s46
	s_addc_u32 s47, s17, s47
	s_load_dwordx2 s[46:47], s[46:47], 0x0
	s_mul_i32 s6, s34, s44
	v_mov_b32_e32 v25, v21
	v_mov_b32_e32 v24, v20
	s_waitcnt lgkmcnt(0)
	s_sub_u32 s46, s46, s55
	s_subb_u32 s47, s47, 0
	s_lshl_b64 s[6:7], s[6:7], 4
	v_mov_b32_e32 v10, s7
	v_add_co_u32_e32 v44, vcc, s6, v42
	v_addc_co_u32_e32 v45, vcc, v43, v10, vcc
	v_mov_b32_e32 v10, s46
	v_mad_u64_u32 v[22:23], s[6:7], s8, v10, v[14:15]
	s_mul_i32 s19, s46, s29
	s_mul_hi_u32 s48, s46, s28
	s_mul_i32 s6, s9, s46
	s_mul_i32 s7, s8, s47
	s_add_i32 s19, s48, s19
	s_mul_i32 s48, s47, s28
	s_add_i32 s7, s7, s6
	s_add_i32 s19, s19, s48
	s_mul_i32 s56, s46, s28
	v_add_u32_e32 v23, s7, v23
	s_mov_b64 s[46:47], 0
	s_branch .LBB11_15
.LBB11_14:                              ;   in Loop: Header=BB11_15 Depth=3
	s_or_b64 exec, exec, s[6:7]
	v_add_u32_e32 v30, v36, v37
	s_waitcnt vmcnt(0)
	ds_write_b128 v30, v[10:13]
	s_waitcnt lgkmcnt(0)
	s_barrier
	ds_read_b128 v[10:13], v36
	ds_read_b128 v[46:49], v37 offset:16384
	ds_read_b128 v[50:53], v37 offset:16400
	;; [unrolled: 1-line block ×3, first 2 shown]
	s_add_u32 s46, s46, 32
	v_add_co_u32_e32 v22, vcc, 0x200, v22
	s_waitcnt lgkmcnt(2)
	v_fma_f64 v[28:29], v[10:11], v[46:47], v[28:29]
	v_fma_f64 v[26:27], v[12:13], v[46:47], v[26:27]
	s_addc_u32 s47, s47, 0
	v_addc_co_u32_e32 v23, vcc, 0, v23, vcc
	v_add_co_u32_e32 v24, vcc, 0x200, v24
	v_addc_co_u32_e32 v25, vcc, 0, v25, vcc
	v_fma_f64 v[12:13], -v[12:13], v[48:49], v[28:29]
	v_fma_f64 v[10:11], v[10:11], v[48:49], v[26:27]
	s_waitcnt lgkmcnt(0)
	v_fma_f64 v[12:13], v[54:55], v[50:51], v[12:13]
	v_fma_f64 v[10:11], v[56:57], v[50:51], v[10:11]
	v_fma_f64 v[30:31], -v[56:57], v[52:53], v[12:13]
	v_fma_f64 v[54:55], v[54:55], v[52:53], v[10:11]
	ds_read_b128 v[10:13], v36 offset:1024
	ds_read_b128 v[26:29], v37 offset:16416
	ds_read_b128 v[46:49], v37 offset:16432
	ds_read_b128 v[50:53], v36 offset:1536
	s_waitcnt lgkmcnt(2)
	v_fma_f64 v[30:31], v[10:11], v[26:27], v[30:31]
	v_fma_f64 v[26:27], v[12:13], v[26:27], v[54:55]
	v_fma_f64 v[12:13], -v[12:13], v[28:29], v[30:31]
	v_fma_f64 v[10:11], v[10:11], v[28:29], v[26:27]
	s_waitcnt lgkmcnt(0)
	v_fma_f64 v[12:13], v[50:51], v[46:47], v[12:13]
	v_fma_f64 v[10:11], v[52:53], v[46:47], v[10:11]
	v_fma_f64 v[30:31], -v[52:53], v[48:49], v[12:13]
	v_fma_f64 v[54:55], v[50:51], v[48:49], v[10:11]
	ds_read_b128 v[10:13], v37 offset:16448
	ds_read_b128 v[26:29], v36 offset:2048
	ds_read_b128 v[46:49], v36 offset:2560
	ds_read_b128 v[50:53], v37 offset:16464
	s_waitcnt lgkmcnt(2)
	v_fma_f64 v[30:31], v[26:27], v[10:11], v[30:31]
	v_fma_f64 v[10:11], v[28:29], v[10:11], v[54:55]
	;; [unrolled: 14-line block ×14, first 2 shown]
	v_fma_f64 v[28:29], -v[28:29], v[12:13], v[30:31]
	v_fma_f64 v[10:11], v[26:27], v[12:13], v[10:11]
	s_waitcnt lgkmcnt(0)
	v_fma_f64 v[12:13], v[46:47], v[50:51], v[28:29]
	v_fma_f64 v[10:11], v[48:49], v[50:51], v[10:11]
	v_fma_f64 v[30:31], -v[48:49], v[52:53], v[12:13]
	v_fma_f64 v[54:55], v[46:47], v[52:53], v[10:11]
	ds_read_b128 v[10:13], v37 offset:16864
	ds_read_b128 v[26:29], v36 offset:15360
	ds_read_b128 v[46:49], v36 offset:15872
	ds_read_b128 v[50:53], v37 offset:16880
	s_waitcnt lgkmcnt(0)
	s_barrier
	v_fma_f64 v[30:31], v[26:27], v[10:11], v[30:31]
	v_fma_f64 v[10:11], v[28:29], v[10:11], v[54:55]
	v_fma_f64 v[28:29], -v[28:29], v[12:13], v[30:31]
	v_fma_f64 v[10:11], v[26:27], v[12:13], v[10:11]
	v_fma_f64 v[12:13], v[46:47], v[50:51], v[28:29]
	;; [unrolled: 1-line block ×3, first 2 shown]
	v_fma_f64 v[28:29], -v[48:49], v[52:53], v[12:13]
	v_fma_f64 v[26:27], v[46:47], v[52:53], v[10:11]
	v_mov_b32_e32 v10, s28
	v_mov_b32_e32 v11, s29
	v_cmp_ge_i64_e64 s[6:7], s[46:47], v[10:11]
	s_and_b64 vcc, exec, s[6:7]
	s_cbranch_vccnz .LBB11_12
.LBB11_15:                              ;   Parent Loop BB11_10 Depth=1
                                        ;     Parent Loop BB11_13 Depth=2
                                        ; =>    This Inner Loop Header: Depth=3
	s_mov_b64 s[6:7], -1
	s_and_b64 vcc, exec, s[30:31]
	s_mov_b64 s[48:49], 0
                                        ; implicit-def: $vgpr30_vgpr31
	s_cbranch_vccz .LBB11_21
; %bb.16:                               ;   in Loop: Header=BB11_15 Depth=3
	s_mov_b64 s[6:7], 0
                                        ; implicit-def: $vgpr30_vgpr31
	s_and_saveexec_b64 s[50:51], s[0:1]
	s_cbranch_execz .LBB11_20
; %bb.17:                               ;   in Loop: Header=BB11_15 Depth=3
	v_mov_b32_e32 v11, s47
	v_add_co_u32_e32 v10, vcc, s46, v0
	v_addc_co_u32_e32 v11, vcc, 0, v11, vcc
	v_cmp_gt_i64_e32 vcc, s[28:29], v[10:11]
                                        ; implicit-def: $vgpr30_vgpr31
	s_and_saveexec_b64 s[52:53], vcc
	s_xor_b64 s[52:53], exec, s[52:53]
	s_cbranch_execz .LBB11_19
; %bb.18:                               ;   in Loop: Header=BB11_15 Depth=3
	v_mov_b32_e32 v12, s19
	v_add_co_u32_e32 v10, vcc, s56, v10
	v_addc_co_u32_e32 v11, vcc, v11, v12, vcc
	v_mul_lo_u32 v12, v11, s14
	v_mul_lo_u32 v13, v10, s15
	v_mad_u64_u32 v[10:11], s[58:59], v10, s14, 0
	s_mov_b64 s[48:49], exec
	v_add3_u32 v11, v11, v13, v12
	v_lshlrev_b64 v[10:11], 4, v[10:11]
	v_add_co_u32_e32 v30, vcc, v34, v10
	v_addc_co_u32_e32 v31, vcc, v35, v11, vcc
.LBB11_19:                              ;   in Loop: Header=BB11_15 Depth=3
	s_or_b64 exec, exec, s[52:53]
	s_and_b64 s[48:49], s[48:49], exec
.LBB11_20:                              ;   in Loop: Header=BB11_15 Depth=3
	s_or_b64 exec, exec, s[50:51]
.LBB11_21:                              ;   in Loop: Header=BB11_15 Depth=3
	s_and_b64 vcc, exec, s[6:7]
	s_cbranch_vccz .LBB11_25
; %bb.22:                               ;   in Loop: Header=BB11_15 Depth=3
	s_and_saveexec_b64 s[6:7], s[0:1]
; %bb.23:                               ;   in Loop: Header=BB11_15 Depth=3
	v_mov_b32_e32 v11, s47
	v_add_co_u32_e32 v10, vcc, s46, v0
	v_addc_co_u32_e32 v11, vcc, 0, v11, vcc
	v_cmp_gt_i64_e32 vcc, s[28:29], v[10:11]
	s_andn2_b64 s[48:49], s[48:49], exec
	s_and_b64 s[50:51], vcc, exec
	s_or_b64 s[48:49], s[48:49], s[50:51]
; %bb.24:                               ;   in Loop: Header=BB11_15 Depth=3
	s_or_b64 exec, exec, s[6:7]
	v_mov_b32_e32 v31, v23
	v_mov_b32_e32 v30, v22
.LBB11_25:                              ;   in Loop: Header=BB11_15 Depth=3
	v_mov_b32_e32 v10, 0
	v_mov_b32_e32 v12, 0
	v_mov_b32_e32 v11, 0
	v_mov_b32_e32 v13, 0
	s_and_saveexec_b64 s[6:7], s[48:49]
	s_cbranch_execz .LBB11_27
; %bb.26:                               ;   in Loop: Header=BB11_15 Depth=3
	global_load_dwordx4 v[10:13], v[30:31], off
.LBB11_27:                              ;   in Loop: Header=BB11_15 Depth=3
	s_or_b64 exec, exec, s[6:7]
	s_and_b64 vcc, exec, s[26:27]
	s_waitcnt vmcnt(0)
	ds_write_b128 v41, v[10:13]
	s_cbranch_vccz .LBB11_33
; %bb.28:                               ;   in Loop: Header=BB11_15 Depth=3
	s_mov_b64 s[6:7], 0
	s_mov_b64 s[48:49], 0
                                        ; implicit-def: $vgpr30_vgpr31
	s_and_saveexec_b64 s[50:51], s[4:5]
	s_cbranch_execz .LBB11_32
; %bb.29:                               ;   in Loop: Header=BB11_15 Depth=3
	v_mov_b32_e32 v11, s47
	v_add_co_u32_e32 v10, vcc, s46, v1
	v_addc_co_u32_e32 v11, vcc, 0, v11, vcc
	v_cmp_gt_i64_e32 vcc, s[28:29], v[10:11]
                                        ; implicit-def: $vgpr30_vgpr31
	s_and_saveexec_b64 s[52:53], vcc
	s_xor_b64 s[52:53], exec, s[52:53]
	s_cbranch_execz .LBB11_31
; %bb.30:                               ;   in Loop: Header=BB11_15 Depth=3
	v_mul_lo_u32 v12, v11, s28
	v_mul_lo_u32 v13, v10, s29
	v_mad_u64_u32 v[10:11], s[58:59], v10, s28, 0
	s_mov_b64 s[48:49], exec
	v_add3_u32 v11, v11, v13, v12
	v_lshlrev_b64 v[10:11], 4, v[10:11]
	v_add_co_u32_e32 v30, vcc, v44, v10
	v_addc_co_u32_e32 v31, vcc, v45, v11, vcc
.LBB11_31:                              ;   in Loop: Header=BB11_15 Depth=3
	s_or_b64 exec, exec, s[52:53]
	s_and_b64 s[48:49], s[48:49], exec
.LBB11_32:                              ;   in Loop: Header=BB11_15 Depth=3
	s_or_b64 exec, exec, s[50:51]
	s_and_b64 vcc, exec, s[6:7]
	s_cbranch_vccnz .LBB11_34
	s_branch .LBB11_37
.LBB11_33:                              ;   in Loop: Header=BB11_15 Depth=3
	s_mov_b64 s[48:49], 0
                                        ; implicit-def: $vgpr30_vgpr31
	s_cbranch_execz .LBB11_37
.LBB11_34:                              ;   in Loop: Header=BB11_15 Depth=3
	s_and_saveexec_b64 s[6:7], s[4:5]
; %bb.35:                               ;   in Loop: Header=BB11_15 Depth=3
	v_mov_b32_e32 v11, s47
	v_add_co_u32_e32 v10, vcc, s46, v1
	v_addc_co_u32_e32 v11, vcc, 0, v11, vcc
	v_cmp_gt_i64_e32 vcc, s[28:29], v[10:11]
	s_andn2_b64 s[48:49], s[48:49], exec
	s_and_b64 s[50:51], vcc, exec
	s_or_b64 s[48:49], s[48:49], s[50:51]
; %bb.36:                               ;   in Loop: Header=BB11_15 Depth=3
	s_or_b64 exec, exec, s[6:7]
	v_mov_b32_e32 v31, v25
	v_mov_b32_e32 v30, v24
.LBB11_37:                              ;   in Loop: Header=BB11_15 Depth=3
	v_mov_b32_e32 v10, 0
	v_mov_b32_e32 v12, 0
	;; [unrolled: 1-line block ×4, first 2 shown]
	s_and_saveexec_b64 s[6:7], s[48:49]
	s_cbranch_execz .LBB11_14
; %bb.38:                               ;   in Loop: Header=BB11_15 Depth=3
	global_load_dwordx4 v[10:13], v[30:31], off
	s_branch .LBB11_14
.LBB11_39:                              ;   in Loop: Header=BB11_10 Depth=1
	v_cmp_gt_i64_e32 vcc, s[28:29], v[18:19]
	s_and_b64 s[6:7], s[36:37], vcc
	s_and_saveexec_b64 s[4:5], s[6:7]
	s_cbranch_execz .LBB11_9
; %bb.40:                               ;   in Loop: Header=BB11_10 Depth=1
	v_mov_b32_e32 v10, s33
	v_add_co_u32_e32 v18, vcc, s54, v18
	v_addc_co_u32_e32 v19, vcc, v19, v10, vcc
	s_and_saveexec_b64 s[6:7], s[40:41]
	s_xor_b64 s[6:7], exec, s[6:7]
	s_cbranch_execz .LBB11_45
; %bb.41:                               ;   in Loop: Header=BB11_10 Depth=1
	s_mov_b64 s[44:45], -1
	s_and_b64 vcc, exec, s[20:21]
	s_cbranch_vccz .LBB11_43
; %bb.42:                               ;   in Loop: Header=BB11_10 Depth=1
	v_mul_lo_u32 v12, v19, s10
	v_mul_lo_u32 v13, v18, s11
	v_mad_u64_u32 v[10:11], s[44:45], v18, s10, 0
	v_mul_f64 v[22:23], v[26:27], -v[4:5]
	v_mul_f64 v[24:25], v[2:3], v[26:27]
	v_add3_u32 v11, v11, v13, v12
	v_lshlrev_b64 v[10:11], 4, v[10:11]
	s_mov_b64 s[44:45], 0
	v_add_co_u32_e32 v20, vcc, v32, v10
	v_addc_co_u32_e32 v21, vcc, v33, v11, vcc
	global_load_dwordx4 v[10:13], v[20:21], off
	v_fma_f64 v[22:23], v[2:3], v[28:29], v[22:23]
	v_fma_f64 v[24:25], v[4:5], v[28:29], v[24:25]
	s_waitcnt vmcnt(0)
	v_fma_f64 v[22:23], v[6:7], v[10:11], v[22:23]
	v_fma_f64 v[24:25], v[8:9], v[10:11], v[24:25]
	v_fma_f64 v[10:11], -v[8:9], v[12:13], v[22:23]
	v_fma_f64 v[12:13], v[6:7], v[12:13], v[24:25]
	global_store_dwordx4 v[20:21], v[10:13], off
.LBB11_43:                              ;   in Loop: Header=BB11_10 Depth=1
	s_andn2_b64 vcc, exec, s[44:45]
	s_cbranch_vccnz .LBB11_45
; %bb.44:                               ;   in Loop: Header=BB11_10 Depth=1
	v_lshlrev_b64 v[10:11], 4, v[18:19]
	v_mul_f64 v[20:21], v[26:27], -v[4:5]
	v_add_co_u32_e32 v18, vcc, v38, v10
	v_addc_co_u32_e32 v19, vcc, v39, v11, vcc
	global_load_dwordx4 v[10:13], v[18:19], off
	v_mul_f64 v[22:23], v[2:3], v[26:27]
                                        ; implicit-def: $vgpr26_vgpr27
	v_fma_f64 v[20:21], v[2:3], v[28:29], v[20:21]
	v_fma_f64 v[22:23], v[4:5], v[28:29], v[22:23]
                                        ; implicit-def: $vgpr28_vgpr29
	s_waitcnt vmcnt(0)
	v_fma_f64 v[20:21], v[6:7], v[10:11], v[20:21]
	v_fma_f64 v[22:23], v[8:9], v[10:11], v[22:23]
	v_fma_f64 v[10:11], -v[8:9], v[12:13], v[20:21]
	v_fma_f64 v[12:13], v[6:7], v[12:13], v[22:23]
	global_store_dwordx4 v[18:19], v[10:13], off
                                        ; implicit-def: $vgpr18_vgpr19
.LBB11_45:                              ;   in Loop: Header=BB11_10 Depth=1
	s_andn2_saveexec_b64 s[6:7], s[6:7]
	s_cbranch_execz .LBB11_9
; %bb.46:                               ;   in Loop: Header=BB11_10 Depth=1
	v_mul_f64 v[10:11], v[26:27], -v[4:5]
	v_mul_f64 v[12:13], v[2:3], v[26:27]
	s_mov_b64 s[6:7], -1
	s_and_b64 vcc, exec, s[20:21]
	v_fma_f64 v[10:11], v[2:3], v[28:29], v[10:11]
	v_fma_f64 v[12:13], v[4:5], v[28:29], v[12:13]
	s_cbranch_vccz .LBB11_48
; %bb.47:                               ;   in Loop: Header=BB11_10 Depth=1
	v_mul_lo_u32 v22, v19, s10
	v_mul_lo_u32 v23, v18, s11
	v_mad_u64_u32 v[20:21], s[6:7], v18, s10, 0
	s_mov_b64 s[6:7], 0
	v_add3_u32 v21, v21, v23, v22
	v_lshlrev_b64 v[20:21], 4, v[20:21]
	v_add_co_u32_e32 v20, vcc, v32, v20
	v_addc_co_u32_e32 v21, vcc, v33, v21, vcc
	global_store_dwordx4 v[20:21], v[10:13], off
.LBB11_48:                              ;   in Loop: Header=BB11_10 Depth=1
	s_andn2_b64 vcc, exec, s[6:7]
	s_cbranch_vccnz .LBB11_9
; %bb.49:                               ;   in Loop: Header=BB11_10 Depth=1
	v_lshlrev_b64 v[18:19], 4, v[18:19]
	v_add_co_u32_e32 v18, vcc, v38, v18
	v_addc_co_u32_e32 v19, vcc, v39, v19, vcc
	global_store_dwordx4 v[18:19], v[10:13], off
	s_branch .LBB11_9
.LBB11_50:
	s_endpgm
	.section	.rodata,"a",@progbits
	.p2align	6, 0x0
	.amdhsa_kernel _ZN9rocsparseL29bsrmm_general_blockdim_kernelILj32ELj32Ell21rocsparse_complex_numIdES2_S2_S2_EEvb20rocsparse_direction_T2_S4_llNS_24const_host_device_scalarIT6_EEPKT1_PKS4_PKT3_S4_PKT4_llS7_PT5_ll16rocsparse_order_21rocsparse_index_base_b
		.amdhsa_group_segment_fixed_size 32768
		.amdhsa_private_segment_fixed_size 0
		.amdhsa_kernarg_size 164
		.amdhsa_user_sgpr_count 6
		.amdhsa_user_sgpr_private_segment_buffer 1
		.amdhsa_user_sgpr_dispatch_ptr 0
		.amdhsa_user_sgpr_queue_ptr 0
		.amdhsa_user_sgpr_kernarg_segment_ptr 1
		.amdhsa_user_sgpr_dispatch_id 0
		.amdhsa_user_sgpr_flat_scratch_init 0
		.amdhsa_user_sgpr_private_segment_size 0
		.amdhsa_uses_dynamic_stack 0
		.amdhsa_system_sgpr_private_segment_wavefront_offset 0
		.amdhsa_system_sgpr_workgroup_id_x 1
		.amdhsa_system_sgpr_workgroup_id_y 1
		.amdhsa_system_sgpr_workgroup_id_z 0
		.amdhsa_system_sgpr_workgroup_info 0
		.amdhsa_system_vgpr_workitem_id 1
		.amdhsa_next_free_vgpr 58
		.amdhsa_next_free_sgpr 61
		.amdhsa_reserve_vcc 1
		.amdhsa_reserve_flat_scratch 0
		.amdhsa_float_round_mode_32 0
		.amdhsa_float_round_mode_16_64 0
		.amdhsa_float_denorm_mode_32 3
		.amdhsa_float_denorm_mode_16_64 3
		.amdhsa_dx10_clamp 1
		.amdhsa_ieee_mode 1
		.amdhsa_fp16_overflow 0
		.amdhsa_exception_fp_ieee_invalid_op 0
		.amdhsa_exception_fp_denorm_src 0
		.amdhsa_exception_fp_ieee_div_zero 0
		.amdhsa_exception_fp_ieee_overflow 0
		.amdhsa_exception_fp_ieee_underflow 0
		.amdhsa_exception_fp_ieee_inexact 0
		.amdhsa_exception_int_div_zero 0
	.end_amdhsa_kernel
	.section	.text._ZN9rocsparseL29bsrmm_general_blockdim_kernelILj32ELj32Ell21rocsparse_complex_numIdES2_S2_S2_EEvb20rocsparse_direction_T2_S4_llNS_24const_host_device_scalarIT6_EEPKT1_PKS4_PKT3_S4_PKT4_llS7_PT5_ll16rocsparse_order_21rocsparse_index_base_b,"axG",@progbits,_ZN9rocsparseL29bsrmm_general_blockdim_kernelILj32ELj32Ell21rocsparse_complex_numIdES2_S2_S2_EEvb20rocsparse_direction_T2_S4_llNS_24const_host_device_scalarIT6_EEPKT1_PKS4_PKT3_S4_PKT4_llS7_PT5_ll16rocsparse_order_21rocsparse_index_base_b,comdat
.Lfunc_end11:
	.size	_ZN9rocsparseL29bsrmm_general_blockdim_kernelILj32ELj32Ell21rocsparse_complex_numIdES2_S2_S2_EEvb20rocsparse_direction_T2_S4_llNS_24const_host_device_scalarIT6_EEPKT1_PKS4_PKT3_S4_PKT4_llS7_PT5_ll16rocsparse_order_21rocsparse_index_base_b, .Lfunc_end11-_ZN9rocsparseL29bsrmm_general_blockdim_kernelILj32ELj32Ell21rocsparse_complex_numIdES2_S2_S2_EEvb20rocsparse_direction_T2_S4_llNS_24const_host_device_scalarIT6_EEPKT1_PKS4_PKT3_S4_PKT4_llS7_PT5_ll16rocsparse_order_21rocsparse_index_base_b
                                        ; -- End function
	.set _ZN9rocsparseL29bsrmm_general_blockdim_kernelILj32ELj32Ell21rocsparse_complex_numIdES2_S2_S2_EEvb20rocsparse_direction_T2_S4_llNS_24const_host_device_scalarIT6_EEPKT1_PKS4_PKT3_S4_PKT4_llS7_PT5_ll16rocsparse_order_21rocsparse_index_base_b.num_vgpr, 58
	.set _ZN9rocsparseL29bsrmm_general_blockdim_kernelILj32ELj32Ell21rocsparse_complex_numIdES2_S2_S2_EEvb20rocsparse_direction_T2_S4_llNS_24const_host_device_scalarIT6_EEPKT1_PKS4_PKT3_S4_PKT4_llS7_PT5_ll16rocsparse_order_21rocsparse_index_base_b.num_agpr, 0
	.set _ZN9rocsparseL29bsrmm_general_blockdim_kernelILj32ELj32Ell21rocsparse_complex_numIdES2_S2_S2_EEvb20rocsparse_direction_T2_S4_llNS_24const_host_device_scalarIT6_EEPKT1_PKS4_PKT3_S4_PKT4_llS7_PT5_ll16rocsparse_order_21rocsparse_index_base_b.numbered_sgpr, 60
	.set _ZN9rocsparseL29bsrmm_general_blockdim_kernelILj32ELj32Ell21rocsparse_complex_numIdES2_S2_S2_EEvb20rocsparse_direction_T2_S4_llNS_24const_host_device_scalarIT6_EEPKT1_PKS4_PKT3_S4_PKT4_llS7_PT5_ll16rocsparse_order_21rocsparse_index_base_b.num_named_barrier, 0
	.set _ZN9rocsparseL29bsrmm_general_blockdim_kernelILj32ELj32Ell21rocsparse_complex_numIdES2_S2_S2_EEvb20rocsparse_direction_T2_S4_llNS_24const_host_device_scalarIT6_EEPKT1_PKS4_PKT3_S4_PKT4_llS7_PT5_ll16rocsparse_order_21rocsparse_index_base_b.private_seg_size, 0
	.set _ZN9rocsparseL29bsrmm_general_blockdim_kernelILj32ELj32Ell21rocsparse_complex_numIdES2_S2_S2_EEvb20rocsparse_direction_T2_S4_llNS_24const_host_device_scalarIT6_EEPKT1_PKS4_PKT3_S4_PKT4_llS7_PT5_ll16rocsparse_order_21rocsparse_index_base_b.uses_vcc, 1
	.set _ZN9rocsparseL29bsrmm_general_blockdim_kernelILj32ELj32Ell21rocsparse_complex_numIdES2_S2_S2_EEvb20rocsparse_direction_T2_S4_llNS_24const_host_device_scalarIT6_EEPKT1_PKS4_PKT3_S4_PKT4_llS7_PT5_ll16rocsparse_order_21rocsparse_index_base_b.uses_flat_scratch, 0
	.set _ZN9rocsparseL29bsrmm_general_blockdim_kernelILj32ELj32Ell21rocsparse_complex_numIdES2_S2_S2_EEvb20rocsparse_direction_T2_S4_llNS_24const_host_device_scalarIT6_EEPKT1_PKS4_PKT3_S4_PKT4_llS7_PT5_ll16rocsparse_order_21rocsparse_index_base_b.has_dyn_sized_stack, 0
	.set _ZN9rocsparseL29bsrmm_general_blockdim_kernelILj32ELj32Ell21rocsparse_complex_numIdES2_S2_S2_EEvb20rocsparse_direction_T2_S4_llNS_24const_host_device_scalarIT6_EEPKT1_PKS4_PKT3_S4_PKT4_llS7_PT5_ll16rocsparse_order_21rocsparse_index_base_b.has_recursion, 0
	.set _ZN9rocsparseL29bsrmm_general_blockdim_kernelILj32ELj32Ell21rocsparse_complex_numIdES2_S2_S2_EEvb20rocsparse_direction_T2_S4_llNS_24const_host_device_scalarIT6_EEPKT1_PKS4_PKT3_S4_PKT4_llS7_PT5_ll16rocsparse_order_21rocsparse_index_base_b.has_indirect_call, 0
	.section	.AMDGPU.csdata,"",@progbits
; Kernel info:
; codeLenInByte = 3752
; TotalNumSgprs: 64
; NumVgprs: 58
; ScratchSize: 0
; MemoryBound: 1
; FloatMode: 240
; IeeeMode: 1
; LDSByteSize: 32768 bytes/workgroup (compile time only)
; SGPRBlocks: 8
; VGPRBlocks: 14
; NumSGPRsForWavesPerEU: 65
; NumVGPRsForWavesPerEU: 58
; Occupancy: 4
; WaveLimiterHint : 1
; COMPUTE_PGM_RSRC2:SCRATCH_EN: 0
; COMPUTE_PGM_RSRC2:USER_SGPR: 6
; COMPUTE_PGM_RSRC2:TRAP_HANDLER: 0
; COMPUTE_PGM_RSRC2:TGID_X_EN: 1
; COMPUTE_PGM_RSRC2:TGID_Y_EN: 1
; COMPUTE_PGM_RSRC2:TGID_Z_EN: 0
; COMPUTE_PGM_RSRC2:TIDIG_COMP_CNT: 1
	.section	.text._ZN9rocsparseL29bsrmm_general_blockdim_kernelILj32ELj32EiiDF16_DF16_ffEEvb20rocsparse_direction_T2_S2_llNS_24const_host_device_scalarIT6_EEPKT1_PKS2_PKT3_S2_PKT4_llS5_PT5_ll16rocsparse_order_21rocsparse_index_base_b,"axG",@progbits,_ZN9rocsparseL29bsrmm_general_blockdim_kernelILj32ELj32EiiDF16_DF16_ffEEvb20rocsparse_direction_T2_S2_llNS_24const_host_device_scalarIT6_EEPKT1_PKS2_PKT3_S2_PKT4_llS5_PT5_ll16rocsparse_order_21rocsparse_index_base_b,comdat
	.globl	_ZN9rocsparseL29bsrmm_general_blockdim_kernelILj32ELj32EiiDF16_DF16_ffEEvb20rocsparse_direction_T2_S2_llNS_24const_host_device_scalarIT6_EEPKT1_PKS2_PKT3_S2_PKT4_llS5_PT5_ll16rocsparse_order_21rocsparse_index_base_b ; -- Begin function _ZN9rocsparseL29bsrmm_general_blockdim_kernelILj32ELj32EiiDF16_DF16_ffEEvb20rocsparse_direction_T2_S2_llNS_24const_host_device_scalarIT6_EEPKT1_PKS2_PKT3_S2_PKT4_llS5_PT5_ll16rocsparse_order_21rocsparse_index_base_b
	.p2align	8
	.type	_ZN9rocsparseL29bsrmm_general_blockdim_kernelILj32ELj32EiiDF16_DF16_ffEEvb20rocsparse_direction_T2_S2_llNS_24const_host_device_scalarIT6_EEPKT1_PKS2_PKT3_S2_PKT4_llS5_PT5_ll16rocsparse_order_21rocsparse_index_base_b,@function
_ZN9rocsparseL29bsrmm_general_blockdim_kernelILj32ELj32EiiDF16_DF16_ffEEvb20rocsparse_direction_T2_S2_llNS_24const_host_device_scalarIT6_EEPKT1_PKS2_PKT3_S2_PKT4_llS5_PT5_ll16rocsparse_order_21rocsparse_index_base_b: ; @_ZN9rocsparseL29bsrmm_general_blockdim_kernelILj32ELj32EiiDF16_DF16_ffEEvb20rocsparse_direction_T2_S2_llNS_24const_host_device_scalarIT6_EEPKT1_PKS2_PKT3_S2_PKT4_llS5_PT5_ll16rocsparse_order_21rocsparse_index_base_b
; %bb.0:
	s_load_dwordx4 s[8:11], s[4:5], 0x80
	s_mov_b32 s0, s7
	s_waitcnt lgkmcnt(0)
	s_bitcmp1_b32 s10, 0
	s_load_dwordx2 s[10:11], s[4:5], 0x20
	s_load_dwordx2 s[28:29], s[4:5], 0x60
	s_cselect_b64 s[12:13], -1, 0
	s_xor_b64 s[2:3], s[12:13], -1
	s_and_b64 vcc, exec, s[12:13]
	s_cbranch_vccnz .LBB12_2
; %bb.1:
	s_waitcnt lgkmcnt(0)
	s_load_dword s10, s[10:11], 0x0
.LBB12_2:
	s_andn2_b64 vcc, exec, s[2:3]
	s_cbranch_vccnz .LBB12_4
; %bb.3:
	s_waitcnt lgkmcnt(0)
	s_load_dword s28, s[28:29], 0x0
.LBB12_4:
	s_waitcnt lgkmcnt(0)
	v_cmp_eq_f32_e64 s[2:3], s10, 0
	v_cmp_eq_f32_e64 s[12:13], s28, 1.0
	s_and_b64 s[2:3], s[2:3], s[12:13]
	s_mov_b32 s11, 0
	s_and_b64 vcc, exec, s[2:3]
	s_cbranch_vccnz .LBB12_55
; %bb.5:
	s_load_dwordx4 s[24:27], s[4:5], 0x0
	s_load_dwordx2 s[12:13], s[4:5], 0x28
	s_waitcnt lgkmcnt(0)
	s_cmp_lt_i32 s6, s26
	s_cselect_b64 s[2:3], -1, 0
	s_cmp_ge_i32 s6, s26
	s_cbranch_scc0 .LBB12_8
; %bb.6:
	s_andn2_b64 vcc, exec, s[2:3]
	s_mov_b32 s29, 0
	s_cbranch_vccz .LBB12_9
.LBB12_7:
	s_load_dword s33, s[4:5], 0x40
	s_waitcnt lgkmcnt(0)
	s_cmp_lt_i32 s33, 1
	s_cbranch_scc0 .LBB12_10
	s_branch .LBB12_55
.LBB12_8:
	s_ashr_i32 s7, s6, 31
	s_lshl_b64 s[14:15], s[6:7], 2
	s_add_u32 s14, s12, s14
	s_addc_u32 s15, s13, s15
	s_load_dword s1, s[14:15], 0x0
	s_waitcnt lgkmcnt(0)
	s_sub_i32 s11, s1, s9
	s_andn2_b64 vcc, exec, s[2:3]
	s_mov_b32 s29, 0
	s_cbranch_vccnz .LBB12_7
.LBB12_9:
	s_ashr_i32 s7, s6, 31
	s_lshl_b64 s[14:15], s[6:7], 2
	s_add_u32 s12, s12, s14
	s_addc_u32 s13, s13, s15
	s_load_dword s1, s[12:13], 0x4
	s_waitcnt lgkmcnt(0)
	s_sub_i32 s29, s1, s9
	s_load_dword s33, s[4:5], 0x40
	s_waitcnt lgkmcnt(0)
	s_cmp_lt_i32 s33, 1
	s_cbranch_scc1 .LBB12_55
.LBB12_10:
	s_load_dwordx4 s[12:15], s[4:5], 0x68
	s_load_dwordx4 s[16:19], s[4:5], 0x30
	;; [unrolled: 1-line block ×3, first 2 shown]
	v_lshl_add_u32 v2, s0, 5, v1
	v_ashrrev_i32_e32 v3, 31, v2
	s_mul_i32 s42, s33, s6
	v_lshlrev_b64 v[4:5], 1, v[2:3]
	s_waitcnt lgkmcnt(0)
	v_mul_lo_u32 v12, s22, v3
	v_mul_lo_u32 v13, s23, v2
	v_mad_u64_u32 v[10:11], s[6:7], s22, v2, 0
	s_bitcmp1_b32 s24, 0
	s_cselect_b64 s[4:5], -1, 0
	v_mov_b32_e32 v8, s21
	v_add_co_u32_e32 v7, vcc, s20, v4
	v_add3_u32 v11, v11, v12, v13
	s_xor_b64 s[30:31], s[4:5], -1
	v_addc_co_u32_e32 v8, vcc, v8, v5, vcc
	v_lshlrev_b64 v[4:5], 1, v[10:11]
	s_cmp_lt_i32 s11, s29
	s_cselect_b64 s[4:5], -1, 0
	v_cmp_gt_i32_e64 s[0:1], s27, v2
	v_mov_b32_e32 v11, s21
	v_add_co_u32_e32 v10, vcc, s20, v4
	s_cmp_lg_u32 s25, 0
	v_addc_co_u32_e32 v11, vcc, v11, v5, vcc
	s_cselect_b64 s[6:7], -1, 0
	s_and_b64 s[20:21], s[2:3], s[0:1]
	v_lshlrev_b64 v[4:5], 2, v[2:3]
	v_mul_lo_u32 v14, s14, v3
	v_mul_lo_u32 v15, s15, v2
	v_mad_u64_u32 v[2:3], s[2:3], s14, v2, 0
	v_mov_b32_e32 v13, s13
	v_add_co_u32_e32 v12, vcc, s12, v4
	v_add3_u32 v3, v3, v14, v15
	v_lshlrev_b64 v[2:3], 2, v[2:3]
	v_addc_co_u32_e32 v13, vcc, v13, v5, vcc
	s_mul_i32 s2, s11, s33
	v_mov_b32_e32 v4, s13
	v_add_co_u32_e32 v14, vcc, s12, v2
	v_add_u32_e32 v2, s2, v0
	v_addc_co_u32_e32 v15, vcc, v4, v3, vcc
	v_mad_u64_u32 v[2:3], s[2:3], s33, v2, v[1:2]
	v_lshlrev_b32_e32 v6, 2, v0
	v_or_b32_e32 v16, 0x1000, v6
	v_lshlrev_b32_e32 v9, 7, v1
	s_cmp_lg_u32 s8, 1
	v_cndmask_b32_e64 v3, 0, 1, s[4:5]
	s_mov_b32 s43, 0
	v_cmp_neq_f32_e64 s[24:25], s28, 0
	s_cselect_b64 s[26:27], -1, 0
	s_lshl_b32 s8, s33, 5
	s_mul_i32 s44, s33, s33
	v_cmp_ne_u32_e64 s[2:3], 1, v3
	v_add_u32_e32 v16, v16, v9
	s_branch .LBB12_12
.LBB12_11:                              ;   in Loop: Header=BB12_12 Depth=1
	s_or_b64 exec, exec, s[4:5]
	s_add_i32 s43, s43, 32
	s_cmp_lt_i32 s43, s33
	v_add_u32_e32 v2, s8, v2
	s_cbranch_scc0 .LBB12_55
.LBB12_12:                              ; =>This Loop Header: Depth=1
                                        ;     Child Loop BB12_15 Depth 2
                                        ;       Child Loop BB12_17 Depth 3
	v_add_u32_e32 v3, s43, v0
	v_mov_b32_e32 v17, 0
	s_and_b64 vcc, exec, s[2:3]
	v_cmp_gt_i32_e64 s[4:5], s33, v3
	s_cbranch_vccnz .LBB12_43
; %bb.13:                               ;   in Loop: Header=BB12_12 Depth=1
	v_mov_b32_e32 v17, 0
	v_mov_b32_e32 v18, v2
	s_mov_b32 s12, s11
	s_branch .LBB12_15
.LBB12_14:                              ;   in Loop: Header=BB12_15 Depth=2
	s_add_i32 s12, s12, 1
	s_cmp_ge_i32 s12, s29
	v_add_u32_e32 v18, s44, v18
	s_cbranch_scc1 .LBB12_43
.LBB12_15:                              ;   Parent Loop BB12_12 Depth=1
                                        ; =>  This Loop Header: Depth=2
                                        ;       Child Loop BB12_17 Depth 3
	s_ashr_i32 s13, s12, 31
	s_lshl_b64 s[34:35], s[12:13], 2
	s_add_u32 s34, s16, s34
	s_addc_u32 s35, s17, s35
	s_load_dword s34, s[34:35], 0x0
	s_mul_i32 s13, s12, s33
	s_mov_b32 s45, 0
	s_waitcnt lgkmcnt(0)
	s_sub_i32 s34, s34, s9
	s_mul_i32 s34, s34, s33
	v_add_u32_e32 v19, s34, v0
	s_branch .LBB12_17
.LBB12_16:                              ;   in Loop: Header=BB12_17 Depth=3
	s_or_b64 exec, exec, s[36:37]
	v_add_u32_e32 v4, v6, v9
	ds_write_b32 v4, v5
	s_waitcnt vmcnt(0) lgkmcnt(0)
	s_barrier
	ds_read2_b32 v[4:5], v6 offset1:32
	ds_read_b128 v[20:23], v9 offset:4096
	ds_read_b128 v[24:27], v9 offset:4112
	ds_read2_b32 v[36:37], v6 offset0:64 offset1:96
	ds_read_b128 v[28:31], v9 offset:4128
	ds_read_b128 v[32:35], v9 offset:4144
	ds_read2_b32 v[38:39], v6 offset0:128 offset1:160
	s_waitcnt lgkmcnt(5)
	v_fmac_f32_e32 v17, v4, v20
	v_fmac_f32_e32 v17, v5, v21
	ds_read2_b32 v[4:5], v6 offset0:192 offset1:224
	s_waitcnt lgkmcnt(4)
	v_fmac_f32_e32 v17, v36, v22
	v_fmac_f32_e32 v17, v37, v23
	s_waitcnt lgkmcnt(1)
	v_fmac_f32_e32 v17, v38, v24
	v_add_u32_e32 v24, 0x400, v6
	ds_read2_b32 v[20:21], v24 offset1:32
	v_fmac_f32_e32 v17, v39, v25
	s_waitcnt lgkmcnt(1)
	v_fmac_f32_e32 v17, v4, v26
	v_fmac_f32_e32 v17, v5, v27
	ds_read2_b32 v[4:5], v24 offset0:64 offset1:96
	ds_read2_b32 v[22:23], v24 offset0:128 offset1:160
	s_waitcnt lgkmcnt(2)
	v_fmac_f32_e32 v17, v20, v28
	v_fmac_f32_e32 v17, v21, v29
	ds_read2_b32 v[24:25], v24 offset0:192 offset1:224
	s_waitcnt lgkmcnt(2)
	v_fmac_f32_e32 v17, v4, v30
	v_fmac_f32_e32 v17, v5, v31
	s_waitcnt lgkmcnt(1)
	v_fmac_f32_e32 v17, v22, v32
	v_add_u32_e32 v32, 0x800, v6
	v_fmac_f32_e32 v17, v23, v33
	ds_read2_b32 v[4:5], v32 offset1:32
	ds_read_b128 v[20:23], v9 offset:4160
	s_waitcnt lgkmcnt(2)
	v_fmac_f32_e32 v17, v24, v34
	v_fmac_f32_e32 v17, v25, v35
	ds_read2_b32 v[28:29], v32 offset0:64 offset1:96
	ds_read2_b32 v[30:31], v32 offset0:128 offset1:160
	ds_read_b128 v[24:27], v9 offset:4176
	s_add_i32 s45, s45, 32
	s_waitcnt lgkmcnt(3)
	v_fmac_f32_e32 v17, v4, v20
	v_fmac_f32_e32 v17, v5, v21
	ds_read2_b32 v[4:5], v32 offset0:192 offset1:224
	s_waitcnt lgkmcnt(3)
	v_fmac_f32_e32 v17, v28, v22
	v_fmac_f32_e32 v17, v29, v23
	v_add_u32_e32 v32, 0xc00, v6
	s_waitcnt lgkmcnt(1)
	v_fmac_f32_e32 v17, v30, v24
	ds_read2_b32 v[28:29], v32 offset1:32
	ds_read_b128 v[20:23], v9 offset:4192
	v_fmac_f32_e32 v17, v31, v25
	s_waitcnt lgkmcnt(2)
	v_fmac_f32_e32 v17, v4, v26
	v_fmac_f32_e32 v17, v5, v27
	ds_read2_b32 v[4:5], v32 offset0:64 offset1:96
	ds_read_b128 v[24:27], v9 offset:4208
	ds_read2_b32 v[30:31], v32 offset0:128 offset1:160
	s_waitcnt lgkmcnt(3)
	v_fmac_f32_e32 v17, v28, v20
	v_fmac_f32_e32 v17, v29, v21
	ds_read2_b32 v[20:21], v32 offset0:192 offset1:224
	s_waitcnt lgkmcnt(3)
	v_fmac_f32_e32 v17, v4, v22
	v_fmac_f32_e32 v17, v5, v23
	s_waitcnt lgkmcnt(1)
	v_fmac_f32_e32 v17, v30, v24
	v_fmac_f32_e32 v17, v31, v25
	;; [unrolled: 3-line block ×3, first 2 shown]
	s_cmp_ge_i32 s45, s33
	s_barrier
	s_cbranch_scc1 .LBB12_14
.LBB12_17:                              ;   Parent Loop BB12_12 Depth=1
                                        ;     Parent Loop BB12_15 Depth=2
                                        ; =>    This Inner Loop Header: Depth=3
	s_mov_b64 s[34:35], -1
	s_and_b64 vcc, exec, s[30:31]
                                        ; implicit-def: $vgpr4
	s_cbranch_vccnz .LBB12_26
; %bb.18:                               ;   in Loop: Header=BB12_17 Depth=3
	s_andn2_b64 vcc, exec, s[34:35]
	s_cbranch_vccz .LBB12_31
.LBB12_19:                              ;   in Loop: Header=BB12_17 Depth=3
	s_and_b64 vcc, exec, s[6:7]
	ds_write_b32 v16, v4
	s_cbranch_vccz .LBB12_36
.LBB12_20:                              ;   in Loop: Header=BB12_17 Depth=3
	s_mov_b64 s[36:37], 0
	s_mov_b64 s[34:35], 0
                                        ; implicit-def: $vgpr4
	s_and_saveexec_b64 s[38:39], s[4:5]
	s_cbranch_execz .LBB12_24
; %bb.21:                               ;   in Loop: Header=BB12_17 Depth=3
	v_add_u32_e32 v5, s45, v1
	v_cmp_gt_i32_e32 vcc, s33, v5
                                        ; implicit-def: $vgpr4
	s_and_saveexec_b64 s[40:41], vcc
	s_xor_b64 s[40:41], exec, s[40:41]
; %bb.22:                               ;   in Loop: Header=BB12_17 Depth=3
	v_add_u32_e32 v4, s13, v5
	s_mov_b64 s[34:35], exec
	v_mad_u64_u32 v[4:5], s[46:47], v4, s33, v[3:4]
; %bb.23:                               ;   in Loop: Header=BB12_17 Depth=3
	s_or_b64 exec, exec, s[40:41]
	s_and_b64 s[34:35], s[34:35], exec
.LBB12_24:                              ;   in Loop: Header=BB12_17 Depth=3
	s_or_b64 exec, exec, s[38:39]
	s_and_b64 vcc, exec, s[36:37]
	s_cbranch_vccnz .LBB12_37
.LBB12_25:                              ;   in Loop: Header=BB12_17 Depth=3
	v_mov_b32_e32 v5, 0
	s_and_saveexec_b64 s[36:37], s[34:35]
	s_cbranch_execz .LBB12_16
	s_branch .LBB12_42
.LBB12_26:                              ;   in Loop: Header=BB12_17 Depth=3
	v_mov_b32_e32 v4, 0
	s_and_saveexec_b64 s[34:35], s[0:1]
	s_cbranch_execz .LBB12_30
; %bb.27:                               ;   in Loop: Header=BB12_17 Depth=3
	v_add_u32_e32 v4, s45, v0
	v_cmp_gt_i32_e32 vcc, s33, v4
	v_mov_b32_e32 v4, 0
	s_and_saveexec_b64 s[36:37], vcc
	s_cbranch_execz .LBB12_29
; %bb.28:                               ;   in Loop: Header=BB12_17 Depth=3
	v_add_u32_e32 v4, s45, v19
	v_ashrrev_i32_e32 v20, 31, v4
	v_mul_lo_u32 v21, s23, v4
	v_mad_u64_u32 v[4:5], s[38:39], s22, v4, 0
	v_mul_lo_u32 v20, s22, v20
	v_add3_u32 v5, v5, v20, v21
	v_lshlrev_b64 v[4:5], 1, v[4:5]
	v_add_co_u32_e32 v4, vcc, v7, v4
	v_addc_co_u32_e32 v5, vcc, v8, v5, vcc
	global_load_ushort v4, v[4:5], off
	s_waitcnt vmcnt(0)
	v_cvt_f32_f16_e32 v4, v4
.LBB12_29:                              ;   in Loop: Header=BB12_17 Depth=3
	s_or_b64 exec, exec, s[36:37]
.LBB12_30:                              ;   in Loop: Header=BB12_17 Depth=3
	s_or_b64 exec, exec, s[34:35]
	s_cbranch_execnz .LBB12_19
.LBB12_31:                              ;   in Loop: Header=BB12_17 Depth=3
	v_mov_b32_e32 v4, 0
	s_and_saveexec_b64 s[34:35], s[0:1]
	s_cbranch_execz .LBB12_35
; %bb.32:                               ;   in Loop: Header=BB12_17 Depth=3
	v_add_u32_e32 v4, s45, v0
	v_cmp_gt_i32_e32 vcc, s33, v4
	v_mov_b32_e32 v4, 0
	s_and_saveexec_b64 s[36:37], vcc
	s_cbranch_execz .LBB12_34
; %bb.33:                               ;   in Loop: Header=BB12_17 Depth=3
	v_add_u32_e32 v4, s45, v19
	v_ashrrev_i32_e32 v5, 31, v4
	v_lshlrev_b64 v[4:5], 1, v[4:5]
	v_add_co_u32_e32 v4, vcc, v10, v4
	v_addc_co_u32_e32 v5, vcc, v11, v5, vcc
	global_load_ushort v4, v[4:5], off
	s_waitcnt vmcnt(0)
	v_cvt_f32_f16_e32 v4, v4
.LBB12_34:                              ;   in Loop: Header=BB12_17 Depth=3
	s_or_b64 exec, exec, s[36:37]
.LBB12_35:                              ;   in Loop: Header=BB12_17 Depth=3
	s_or_b64 exec, exec, s[34:35]
	s_and_b64 vcc, exec, s[6:7]
	ds_write_b32 v16, v4
	s_cbranch_vccnz .LBB12_20
.LBB12_36:                              ;   in Loop: Header=BB12_17 Depth=3
	s_mov_b64 s[34:35], 0
                                        ; implicit-def: $vgpr4
	s_cbranch_execz .LBB12_25
.LBB12_37:                              ;   in Loop: Header=BB12_17 Depth=3
                                        ; implicit-def: $vgpr4
	s_and_saveexec_b64 s[36:37], s[4:5]
	s_cbranch_execz .LBB12_41
; %bb.38:                               ;   in Loop: Header=BB12_17 Depth=3
	v_add_u32_e32 v4, s45, v1
	v_cmp_gt_i32_e32 vcc, s33, v4
	s_mov_b64 s[38:39], s[34:35]
                                        ; implicit-def: $vgpr4
	s_and_saveexec_b64 s[40:41], vcc
; %bb.39:                               ;   in Loop: Header=BB12_17 Depth=3
	v_add_u32_e32 v4, s45, v18
	s_or_b64 s[38:39], s[34:35], exec
; %bb.40:                               ;   in Loop: Header=BB12_17 Depth=3
	s_or_b64 exec, exec, s[40:41]
	s_andn2_b64 s[34:35], s[34:35], exec
	s_and_b64 s[38:39], s[38:39], exec
	s_or_b64 s[34:35], s[34:35], s[38:39]
.LBB12_41:                              ;   in Loop: Header=BB12_17 Depth=3
	s_or_b64 exec, exec, s[36:37]
	v_mov_b32_e32 v5, 0
	s_and_saveexec_b64 s[36:37], s[34:35]
	s_cbranch_execz .LBB12_16
.LBB12_42:                              ;   in Loop: Header=BB12_17 Depth=3
	v_ashrrev_i32_e32 v5, 31, v4
	v_lshlrev_b64 v[4:5], 1, v[4:5]
	v_mov_b32_e32 v20, s19
	v_add_co_u32_e32 v4, vcc, s18, v4
	v_addc_co_u32_e32 v5, vcc, v20, v5, vcc
	global_load_ushort v4, v[4:5], off
	s_waitcnt vmcnt(0)
	v_cvt_f32_f16_e32 v5, v4
	s_branch .LBB12_16
.LBB12_43:                              ;   in Loop: Header=BB12_12 Depth=1
	v_cmp_gt_i32_e32 vcc, s33, v3
	s_and_b64 s[12:13], s[20:21], vcc
	s_and_saveexec_b64 s[4:5], s[12:13]
	s_cbranch_execz .LBB12_11
; %bb.44:                               ;   in Loop: Header=BB12_12 Depth=1
	v_add_u32_e32 v3, s42, v3
	s_and_b64 vcc, exec, s[24:25]
	v_ashrrev_i32_e32 v4, 31, v3
	s_mov_b64 s[12:13], -1
	s_cbranch_vccz .LBB12_50
; %bb.45:                               ;   in Loop: Header=BB12_12 Depth=1
	s_and_b64 vcc, exec, s[26:27]
	s_cbranch_vccz .LBB12_47
; %bb.46:                               ;   in Loop: Header=BB12_12 Depth=1
	v_mul_lo_u32 v5, s15, v3
	v_mul_lo_u32 v20, s14, v4
	v_mad_u64_u32 v[18:19], s[12:13], s14, v3, 0
	s_mov_b64 s[12:13], 0
	v_add3_u32 v19, v19, v20, v5
	v_lshlrev_b64 v[18:19], 2, v[18:19]
	v_mul_f32_e32 v20, s10, v17
	v_add_co_u32_e32 v18, vcc, v12, v18
	v_addc_co_u32_e32 v19, vcc, v13, v19, vcc
	global_load_dword v5, v[18:19], off
	s_waitcnt vmcnt(0)
	v_fmac_f32_e32 v20, s28, v5
	global_store_dword v[18:19], v20, off
.LBB12_47:                              ;   in Loop: Header=BB12_12 Depth=1
	s_andn2_b64 vcc, exec, s[12:13]
	s_cbranch_vccnz .LBB12_49
; %bb.48:                               ;   in Loop: Header=BB12_12 Depth=1
	v_lshlrev_b64 v[18:19], 2, v[3:4]
	v_mul_f32_e32 v20, s10, v17
	v_add_co_u32_e32 v18, vcc, v14, v18
	v_addc_co_u32_e32 v19, vcc, v15, v19, vcc
	global_load_dword v5, v[18:19], off
	s_waitcnt vmcnt(0)
	v_fmac_f32_e32 v20, s28, v5
	global_store_dword v[18:19], v20, off
.LBB12_49:                              ;   in Loop: Header=BB12_12 Depth=1
	s_mov_b64 s[12:13], 0
.LBB12_50:                              ;   in Loop: Header=BB12_12 Depth=1
	s_andn2_b64 vcc, exec, s[12:13]
	s_cbranch_vccnz .LBB12_11
; %bb.51:                               ;   in Loop: Header=BB12_12 Depth=1
	v_mul_f32_e32 v5, s10, v17
	s_mov_b64 s[12:13], -1
	s_and_b64 vcc, exec, s[26:27]
	s_cbranch_vccz .LBB12_53
; %bb.52:                               ;   in Loop: Header=BB12_12 Depth=1
	v_mul_lo_u32 v19, s15, v3
	v_mul_lo_u32 v20, s14, v4
	v_mad_u64_u32 v[17:18], s[12:13], s14, v3, 0
	s_mov_b64 s[12:13], 0
	v_add3_u32 v18, v18, v20, v19
	v_lshlrev_b64 v[17:18], 2, v[17:18]
	v_add_co_u32_e32 v17, vcc, v12, v17
	v_addc_co_u32_e32 v18, vcc, v13, v18, vcc
	global_store_dword v[17:18], v5, off
.LBB12_53:                              ;   in Loop: Header=BB12_12 Depth=1
	s_andn2_b64 vcc, exec, s[12:13]
	s_cbranch_vccnz .LBB12_11
; %bb.54:                               ;   in Loop: Header=BB12_12 Depth=1
	v_lshlrev_b64 v[3:4], 2, v[3:4]
	v_add_co_u32_e32 v3, vcc, v14, v3
	v_addc_co_u32_e32 v4, vcc, v15, v4, vcc
	global_store_dword v[3:4], v5, off
	s_branch .LBB12_11
.LBB12_55:
	s_endpgm
	.section	.rodata,"a",@progbits
	.p2align	6, 0x0
	.amdhsa_kernel _ZN9rocsparseL29bsrmm_general_blockdim_kernelILj32ELj32EiiDF16_DF16_ffEEvb20rocsparse_direction_T2_S2_llNS_24const_host_device_scalarIT6_EEPKT1_PKS2_PKT3_S2_PKT4_llS5_PT5_ll16rocsparse_order_21rocsparse_index_base_b
		.amdhsa_group_segment_fixed_size 8192
		.amdhsa_private_segment_fixed_size 0
		.amdhsa_kernarg_size 140
		.amdhsa_user_sgpr_count 6
		.amdhsa_user_sgpr_private_segment_buffer 1
		.amdhsa_user_sgpr_dispatch_ptr 0
		.amdhsa_user_sgpr_queue_ptr 0
		.amdhsa_user_sgpr_kernarg_segment_ptr 1
		.amdhsa_user_sgpr_dispatch_id 0
		.amdhsa_user_sgpr_flat_scratch_init 0
		.amdhsa_user_sgpr_private_segment_size 0
		.amdhsa_uses_dynamic_stack 0
		.amdhsa_system_sgpr_private_segment_wavefront_offset 0
		.amdhsa_system_sgpr_workgroup_id_x 1
		.amdhsa_system_sgpr_workgroup_id_y 1
		.amdhsa_system_sgpr_workgroup_id_z 0
		.amdhsa_system_sgpr_workgroup_info 0
		.amdhsa_system_vgpr_workitem_id 1
		.amdhsa_next_free_vgpr 40
		.amdhsa_next_free_sgpr 61
		.amdhsa_reserve_vcc 1
		.amdhsa_reserve_flat_scratch 0
		.amdhsa_float_round_mode_32 0
		.amdhsa_float_round_mode_16_64 0
		.amdhsa_float_denorm_mode_32 3
		.amdhsa_float_denorm_mode_16_64 3
		.amdhsa_dx10_clamp 1
		.amdhsa_ieee_mode 1
		.amdhsa_fp16_overflow 0
		.amdhsa_exception_fp_ieee_invalid_op 0
		.amdhsa_exception_fp_denorm_src 0
		.amdhsa_exception_fp_ieee_div_zero 0
		.amdhsa_exception_fp_ieee_overflow 0
		.amdhsa_exception_fp_ieee_underflow 0
		.amdhsa_exception_fp_ieee_inexact 0
		.amdhsa_exception_int_div_zero 0
	.end_amdhsa_kernel
	.section	.text._ZN9rocsparseL29bsrmm_general_blockdim_kernelILj32ELj32EiiDF16_DF16_ffEEvb20rocsparse_direction_T2_S2_llNS_24const_host_device_scalarIT6_EEPKT1_PKS2_PKT3_S2_PKT4_llS5_PT5_ll16rocsparse_order_21rocsparse_index_base_b,"axG",@progbits,_ZN9rocsparseL29bsrmm_general_blockdim_kernelILj32ELj32EiiDF16_DF16_ffEEvb20rocsparse_direction_T2_S2_llNS_24const_host_device_scalarIT6_EEPKT1_PKS2_PKT3_S2_PKT4_llS5_PT5_ll16rocsparse_order_21rocsparse_index_base_b,comdat
.Lfunc_end12:
	.size	_ZN9rocsparseL29bsrmm_general_blockdim_kernelILj32ELj32EiiDF16_DF16_ffEEvb20rocsparse_direction_T2_S2_llNS_24const_host_device_scalarIT6_EEPKT1_PKS2_PKT3_S2_PKT4_llS5_PT5_ll16rocsparse_order_21rocsparse_index_base_b, .Lfunc_end12-_ZN9rocsparseL29bsrmm_general_blockdim_kernelILj32ELj32EiiDF16_DF16_ffEEvb20rocsparse_direction_T2_S2_llNS_24const_host_device_scalarIT6_EEPKT1_PKS2_PKT3_S2_PKT4_llS5_PT5_ll16rocsparse_order_21rocsparse_index_base_b
                                        ; -- End function
	.set _ZN9rocsparseL29bsrmm_general_blockdim_kernelILj32ELj32EiiDF16_DF16_ffEEvb20rocsparse_direction_T2_S2_llNS_24const_host_device_scalarIT6_EEPKT1_PKS2_PKT3_S2_PKT4_llS5_PT5_ll16rocsparse_order_21rocsparse_index_base_b.num_vgpr, 40
	.set _ZN9rocsparseL29bsrmm_general_blockdim_kernelILj32ELj32EiiDF16_DF16_ffEEvb20rocsparse_direction_T2_S2_llNS_24const_host_device_scalarIT6_EEPKT1_PKS2_PKT3_S2_PKT4_llS5_PT5_ll16rocsparse_order_21rocsparse_index_base_b.num_agpr, 0
	.set _ZN9rocsparseL29bsrmm_general_blockdim_kernelILj32ELj32EiiDF16_DF16_ffEEvb20rocsparse_direction_T2_S2_llNS_24const_host_device_scalarIT6_EEPKT1_PKS2_PKT3_S2_PKT4_llS5_PT5_ll16rocsparse_order_21rocsparse_index_base_b.numbered_sgpr, 48
	.set _ZN9rocsparseL29bsrmm_general_blockdim_kernelILj32ELj32EiiDF16_DF16_ffEEvb20rocsparse_direction_T2_S2_llNS_24const_host_device_scalarIT6_EEPKT1_PKS2_PKT3_S2_PKT4_llS5_PT5_ll16rocsparse_order_21rocsparse_index_base_b.num_named_barrier, 0
	.set _ZN9rocsparseL29bsrmm_general_blockdim_kernelILj32ELj32EiiDF16_DF16_ffEEvb20rocsparse_direction_T2_S2_llNS_24const_host_device_scalarIT6_EEPKT1_PKS2_PKT3_S2_PKT4_llS5_PT5_ll16rocsparse_order_21rocsparse_index_base_b.private_seg_size, 0
	.set _ZN9rocsparseL29bsrmm_general_blockdim_kernelILj32ELj32EiiDF16_DF16_ffEEvb20rocsparse_direction_T2_S2_llNS_24const_host_device_scalarIT6_EEPKT1_PKS2_PKT3_S2_PKT4_llS5_PT5_ll16rocsparse_order_21rocsparse_index_base_b.uses_vcc, 1
	.set _ZN9rocsparseL29bsrmm_general_blockdim_kernelILj32ELj32EiiDF16_DF16_ffEEvb20rocsparse_direction_T2_S2_llNS_24const_host_device_scalarIT6_EEPKT1_PKS2_PKT3_S2_PKT4_llS5_PT5_ll16rocsparse_order_21rocsparse_index_base_b.uses_flat_scratch, 0
	.set _ZN9rocsparseL29bsrmm_general_blockdim_kernelILj32ELj32EiiDF16_DF16_ffEEvb20rocsparse_direction_T2_S2_llNS_24const_host_device_scalarIT6_EEPKT1_PKS2_PKT3_S2_PKT4_llS5_PT5_ll16rocsparse_order_21rocsparse_index_base_b.has_dyn_sized_stack, 0
	.set _ZN9rocsparseL29bsrmm_general_blockdim_kernelILj32ELj32EiiDF16_DF16_ffEEvb20rocsparse_direction_T2_S2_llNS_24const_host_device_scalarIT6_EEPKT1_PKS2_PKT3_S2_PKT4_llS5_PT5_ll16rocsparse_order_21rocsparse_index_base_b.has_recursion, 0
	.set _ZN9rocsparseL29bsrmm_general_blockdim_kernelILj32ELj32EiiDF16_DF16_ffEEvb20rocsparse_direction_T2_S2_llNS_24const_host_device_scalarIT6_EEPKT1_PKS2_PKT3_S2_PKT4_llS5_PT5_ll16rocsparse_order_21rocsparse_index_base_b.has_indirect_call, 0
	.section	.AMDGPU.csdata,"",@progbits
; Kernel info:
; codeLenInByte = 1928
; TotalNumSgprs: 52
; NumVgprs: 40
; ScratchSize: 0
; MemoryBound: 0
; FloatMode: 240
; IeeeMode: 1
; LDSByteSize: 8192 bytes/workgroup (compile time only)
; SGPRBlocks: 8
; VGPRBlocks: 9
; NumSGPRsForWavesPerEU: 65
; NumVGPRsForWavesPerEU: 40
; Occupancy: 6
; WaveLimiterHint : 1
; COMPUTE_PGM_RSRC2:SCRATCH_EN: 0
; COMPUTE_PGM_RSRC2:USER_SGPR: 6
; COMPUTE_PGM_RSRC2:TRAP_HANDLER: 0
; COMPUTE_PGM_RSRC2:TGID_X_EN: 1
; COMPUTE_PGM_RSRC2:TGID_Y_EN: 1
; COMPUTE_PGM_RSRC2:TGID_Z_EN: 0
; COMPUTE_PGM_RSRC2:TIDIG_COMP_CNT: 1
	.section	.text._ZN9rocsparseL29bsrmm_general_blockdim_kernelILj32ELj32EliDF16_DF16_ffEEvb20rocsparse_direction_T2_S2_llNS_24const_host_device_scalarIT6_EEPKT1_PKS2_PKT3_S2_PKT4_llS5_PT5_ll16rocsparse_order_21rocsparse_index_base_b,"axG",@progbits,_ZN9rocsparseL29bsrmm_general_blockdim_kernelILj32ELj32EliDF16_DF16_ffEEvb20rocsparse_direction_T2_S2_llNS_24const_host_device_scalarIT6_EEPKT1_PKS2_PKT3_S2_PKT4_llS5_PT5_ll16rocsparse_order_21rocsparse_index_base_b,comdat
	.globl	_ZN9rocsparseL29bsrmm_general_blockdim_kernelILj32ELj32EliDF16_DF16_ffEEvb20rocsparse_direction_T2_S2_llNS_24const_host_device_scalarIT6_EEPKT1_PKS2_PKT3_S2_PKT4_llS5_PT5_ll16rocsparse_order_21rocsparse_index_base_b ; -- Begin function _ZN9rocsparseL29bsrmm_general_blockdim_kernelILj32ELj32EliDF16_DF16_ffEEvb20rocsparse_direction_T2_S2_llNS_24const_host_device_scalarIT6_EEPKT1_PKS2_PKT3_S2_PKT4_llS5_PT5_ll16rocsparse_order_21rocsparse_index_base_b
	.p2align	8
	.type	_ZN9rocsparseL29bsrmm_general_blockdim_kernelILj32ELj32EliDF16_DF16_ffEEvb20rocsparse_direction_T2_S2_llNS_24const_host_device_scalarIT6_EEPKT1_PKS2_PKT3_S2_PKT4_llS5_PT5_ll16rocsparse_order_21rocsparse_index_base_b,@function
_ZN9rocsparseL29bsrmm_general_blockdim_kernelILj32ELj32EliDF16_DF16_ffEEvb20rocsparse_direction_T2_S2_llNS_24const_host_device_scalarIT6_EEPKT1_PKS2_PKT3_S2_PKT4_llS5_PT5_ll16rocsparse_order_21rocsparse_index_base_b: ; @_ZN9rocsparseL29bsrmm_general_blockdim_kernelILj32ELj32EliDF16_DF16_ffEEvb20rocsparse_direction_T2_S2_llNS_24const_host_device_scalarIT6_EEPKT1_PKS2_PKT3_S2_PKT4_llS5_PT5_ll16rocsparse_order_21rocsparse_index_base_b
; %bb.0:
	s_load_dwordx4 s[8:11], s[4:5], 0x80
	s_mov_b32 s0, s7
	s_waitcnt lgkmcnt(0)
	s_bitcmp1_b32 s10, 0
	s_load_dwordx2 s[10:11], s[4:5], 0x20
	s_load_dwordx2 s[28:29], s[4:5], 0x60
	s_cselect_b64 s[12:13], -1, 0
	s_xor_b64 s[2:3], s[12:13], -1
	s_and_b64 vcc, exec, s[12:13]
	s_cbranch_vccnz .LBB13_2
; %bb.1:
	s_waitcnt lgkmcnt(0)
	s_load_dword s10, s[10:11], 0x0
.LBB13_2:
	s_andn2_b64 vcc, exec, s[2:3]
	s_cbranch_vccnz .LBB13_4
; %bb.3:
	s_waitcnt lgkmcnt(0)
	s_load_dword s28, s[28:29], 0x0
.LBB13_4:
	s_waitcnt lgkmcnt(0)
	v_cmp_eq_f32_e64 s[2:3], s10, 0
	v_cmp_eq_f32_e64 s[12:13], s28, 1.0
	s_and_b64 s[2:3], s[2:3], s[12:13]
	s_and_b64 vcc, exec, s[2:3]
	s_cbranch_vccnz .LBB13_51
; %bb.5:
	s_load_dwordx4 s[24:27], s[4:5], 0x0
	s_load_dwordx2 s[12:13], s[4:5], 0x28
	s_mov_b64 s[30:31], 0
	s_mov_b64 s[34:35], 0
	s_waitcnt lgkmcnt(0)
	s_cmp_lt_i32 s6, s26
	s_cselect_b64 s[2:3], -1, 0
	s_cmp_ge_i32 s6, s26
	s_cbranch_scc0 .LBB13_8
; %bb.6:
	s_andn2_b64 vcc, exec, s[2:3]
	s_cbranch_vccz .LBB13_9
.LBB13_7:
	s_load_dword s11, s[4:5], 0x40
	s_waitcnt lgkmcnt(0)
	s_cmp_lt_i32 s11, 1
	s_cbranch_scc0 .LBB13_10
	s_branch .LBB13_51
.LBB13_8:
	s_ashr_i32 s7, s6, 31
	s_lshl_b64 s[14:15], s[6:7], 3
	s_add_u32 s14, s12, s14
	s_addc_u32 s15, s13, s15
	s_load_dwordx2 s[14:15], s[14:15], 0x0
	s_waitcnt lgkmcnt(0)
	s_sub_u32 s34, s14, s9
	s_subb_u32 s35, s15, 0
	s_andn2_b64 vcc, exec, s[2:3]
	s_cbranch_vccnz .LBB13_7
.LBB13_9:
	s_ashr_i32 s7, s6, 31
	s_lshl_b64 s[14:15], s[6:7], 3
	s_add_u32 s12, s12, s14
	s_addc_u32 s13, s13, s15
	s_load_dwordx2 s[12:13], s[12:13], 0x8
	s_waitcnt lgkmcnt(0)
	s_sub_u32 s30, s12, s9
	s_subb_u32 s31, s13, 0
	s_load_dword s11, s[4:5], 0x40
	s_waitcnt lgkmcnt(0)
	s_cmp_lt_i32 s11, 1
	s_cbranch_scc1 .LBB13_51
.LBB13_10:
	s_load_dwordx4 s[12:15], s[4:5], 0x68
	s_load_dwordx4 s[16:19], s[4:5], 0x30
	;; [unrolled: 1-line block ×3, first 2 shown]
	s_bitcmp1_b32 s24, 0
	v_lshl_add_u32 v2, s0, 5, v1
	s_cselect_b64 s[4:5], -1, 0
	v_ashrrev_i32_e32 v3, 31, v2
	s_xor_b64 s[36:37], s[4:5], -1
	s_waitcnt lgkmcnt(0)
	v_mul_lo_u32 v11, s22, v3
	v_mul_lo_u32 v12, s23, v2
	v_mad_u64_u32 v[9:10], s[4:5], s22, v2, 0
	v_lshlrev_b64 v[6:7], 1, v[2:3]
	v_mov_b32_e32 v8, s21
	v_add3_u32 v10, v10, v11, v12
	v_add_co_u32_e32 v6, vcc, s20, v6
	v_lshlrev_b64 v[9:10], 1, v[9:10]
	v_addc_co_u32_e32 v7, vcc, v8, v7, vcc
	v_cmp_gt_i32_e64 s[0:1], s27, v2
	v_mov_b32_e32 v11, s21
	v_add_co_u32_e32 v9, vcc, s20, v9
	s_cmp_lg_u32 s25, 0
	s_mul_i32 s29, s11, s6
	v_addc_co_u32_e32 v10, vcc, v11, v10, vcc
	s_cselect_b64 s[6:7], -1, 0
	s_and_b64 s[20:21], s[2:3], s[0:1]
	v_lshlrev_b64 v[11:12], 2, v[2:3]
	v_mul_lo_u32 v14, s14, v3
	v_mul_lo_u32 v17, s15, v2
	v_mad_u64_u32 v[2:3], s[2:3], s14, v2, 0
	v_mov_b32_e32 v13, s13
	v_add_co_u32_e32 v11, vcc, s12, v11
	v_add3_u32 v3, v3, v14, v17
	v_lshlrev_b64 v[2:3], 2, v[2:3]
	v_addc_co_u32_e32 v12, vcc, v13, v12, vcc
	v_mov_b32_e32 v15, s30
	v_mov_b32_e32 v14, s13
	v_add_co_u32_e32 v13, vcc, s12, v2
	v_mov_b32_e32 v16, s31
	v_addc_co_u32_e32 v14, vcc, v14, v3, vcc
	v_cmp_lt_i64_e32 vcc, s[34:35], v[15:16]
	v_lshlrev_b32_e32 v5, 2, v0
	v_or_b32_e32 v4, 0x1000, v5
	v_lshlrev_b32_e32 v8, 7, v1
	s_cmp_lg_u32 s8, 1
	v_cndmask_b32_e64 v2, 0, 1, vcc
	s_mov_b32 s33, 0
	s_mul_i32 s46, s11, s11
	v_cmp_neq_f32_e64 s[24:25], s28, 0
	s_cselect_b64 s[26:27], -1, 0
	v_cmp_ne_u32_e64 s[2:3], 1, v2
	v_add_u32_e32 v15, v4, v8
	s_branch .LBB13_12
.LBB13_11:                              ;   in Loop: Header=BB13_12 Depth=1
	s_or_b64 exec, exec, s[4:5]
	s_add_i32 s33, s33, 32
	s_cmp_lt_i32 s33, s11
	s_cbranch_scc0 .LBB13_51
.LBB13_12:                              ; =>This Loop Header: Depth=1
                                        ;     Child Loop BB13_15 Depth 2
                                        ;       Child Loop BB13_17 Depth 3
	v_add_u32_e32 v17, s33, v0
	v_mov_b32_e32 v16, 0
	s_and_b64 vcc, exec, s[2:3]
	v_cmp_gt_i32_e64 s[4:5], s11, v17
	s_cbranch_vccnz .LBB13_39
; %bb.13:                               ;   in Loop: Header=BB13_12 Depth=1
	v_mov_b32_e32 v16, 0
	s_mov_b64 s[12:13], s[34:35]
	s_branch .LBB13_15
.LBB13_14:                              ;   in Loop: Header=BB13_15 Depth=2
	s_add_u32 s12, s12, 1
	v_mov_b32_e32 v2, s30
	s_addc_u32 s13, s13, 0
	v_mov_b32_e32 v3, s31
	v_cmp_ge_i64_e32 vcc, s[12:13], v[2:3]
	s_cbranch_vccnz .LBB13_39
.LBB13_15:                              ;   Parent Loop BB13_12 Depth=1
                                        ; =>  This Loop Header: Depth=2
                                        ;       Child Loop BB13_17 Depth 3
	s_lshl_b64 s[38:39], s[12:13], 2
	s_add_u32 s38, s16, s38
	s_addc_u32 s39, s17, s39
	s_load_dword s8, s[38:39], 0x0
	s_mul_i32 s39, s13, s46
	s_mul_hi_u32 s40, s12, s46
	s_mul_i32 s38, s12, s46
	s_add_i32 s39, s40, s39
	s_waitcnt lgkmcnt(0)
	s_sub_i32 s8, s8, s9
	s_lshl_b64 s[38:39], s[38:39], 1
	s_mul_i32 s40, s8, s11
	s_add_u32 s8, s18, s38
	s_addc_u32 s47, s19, s39
	v_add_u32_e32 v18, s40, v0
	s_mov_b32 s48, 0
	s_branch .LBB13_17
.LBB13_16:                              ;   in Loop: Header=BB13_17 Depth=3
	s_or_b64 exec, exec, s[40:41]
	v_add_u32_e32 v2, v5, v8
	ds_write_b32 v2, v4
	s_waitcnt vmcnt(0) lgkmcnt(0)
	s_barrier
	ds_read2_b32 v[2:3], v5 offset1:32
	ds_read_b128 v[19:22], v8 offset:4096
	ds_read_b128 v[23:26], v8 offset:4112
	ds_read2_b32 v[35:36], v5 offset0:64 offset1:96
	ds_read_b128 v[27:30], v8 offset:4128
	ds_read_b128 v[31:34], v8 offset:4144
	ds_read2_b32 v[37:38], v5 offset0:128 offset1:160
	s_waitcnt lgkmcnt(5)
	v_fmac_f32_e32 v16, v2, v19
	v_fmac_f32_e32 v16, v3, v20
	ds_read2_b32 v[2:3], v5 offset0:192 offset1:224
	s_waitcnt lgkmcnt(4)
	v_fmac_f32_e32 v16, v35, v21
	v_fmac_f32_e32 v16, v36, v22
	s_waitcnt lgkmcnt(1)
	v_fmac_f32_e32 v16, v37, v23
	v_add_u32_e32 v4, 0x400, v5
	ds_read2_b32 v[19:20], v4 offset1:32
	v_fmac_f32_e32 v16, v38, v24
	s_waitcnt lgkmcnt(1)
	v_fmac_f32_e32 v16, v2, v25
	v_fmac_f32_e32 v16, v3, v26
	ds_read2_b32 v[2:3], v4 offset0:64 offset1:96
	ds_read2_b32 v[21:22], v4 offset0:128 offset1:160
	s_waitcnt lgkmcnt(2)
	v_fmac_f32_e32 v16, v19, v27
	v_fmac_f32_e32 v16, v20, v28
	ds_read2_b32 v[23:24], v4 offset0:192 offset1:224
	s_waitcnt lgkmcnt(2)
	v_fmac_f32_e32 v16, v2, v29
	v_fmac_f32_e32 v16, v3, v30
	s_waitcnt lgkmcnt(1)
	v_fmac_f32_e32 v16, v21, v31
	v_add_u32_e32 v4, 0x800, v5
	v_fmac_f32_e32 v16, v22, v32
	ds_read2_b32 v[2:3], v4 offset1:32
	ds_read_b128 v[19:22], v8 offset:4160
	s_waitcnt lgkmcnt(2)
	v_fmac_f32_e32 v16, v23, v33
	v_fmac_f32_e32 v16, v24, v34
	ds_read2_b32 v[27:28], v4 offset0:64 offset1:96
	ds_read2_b32 v[29:30], v4 offset0:128 offset1:160
	ds_read_b128 v[23:26], v8 offset:4176
	s_add_i32 s48, s48, 32
	s_waitcnt lgkmcnt(3)
	v_fmac_f32_e32 v16, v2, v19
	v_fmac_f32_e32 v16, v3, v20
	ds_read2_b32 v[2:3], v4 offset0:192 offset1:224
	s_waitcnt lgkmcnt(3)
	v_fmac_f32_e32 v16, v27, v21
	v_fmac_f32_e32 v16, v28, v22
	v_add_u32_e32 v4, 0xc00, v5
	s_waitcnt lgkmcnt(1)
	v_fmac_f32_e32 v16, v29, v23
	ds_read2_b32 v[27:28], v4 offset1:32
	ds_read_b128 v[19:22], v8 offset:4192
	v_fmac_f32_e32 v16, v30, v24
	s_waitcnt lgkmcnt(2)
	v_fmac_f32_e32 v16, v2, v25
	v_fmac_f32_e32 v16, v3, v26
	ds_read2_b32 v[2:3], v4 offset0:64 offset1:96
	ds_read_b128 v[23:26], v8 offset:4208
	ds_read2_b32 v[29:30], v4 offset0:128 offset1:160
	s_waitcnt lgkmcnt(3)
	v_fmac_f32_e32 v16, v27, v19
	v_fmac_f32_e32 v16, v28, v20
	ds_read2_b32 v[19:20], v4 offset0:192 offset1:224
	s_waitcnt lgkmcnt(3)
	v_fmac_f32_e32 v16, v2, v21
	v_fmac_f32_e32 v16, v3, v22
	s_waitcnt lgkmcnt(1)
	v_fmac_f32_e32 v16, v29, v23
	v_fmac_f32_e32 v16, v30, v24
	;; [unrolled: 3-line block ×3, first 2 shown]
	s_cmp_ge_i32 s48, s11
	s_barrier
	s_cbranch_scc1 .LBB13_14
.LBB13_17:                              ;   Parent Loop BB13_12 Depth=1
                                        ;     Parent Loop BB13_15 Depth=2
                                        ; =>    This Inner Loop Header: Depth=3
	s_mov_b64 s[38:39], -1
	s_and_b64 vcc, exec, s[36:37]
                                        ; implicit-def: $vgpr2
	s_cbranch_vccnz .LBB13_26
; %bb.18:                               ;   in Loop: Header=BB13_17 Depth=3
	s_andn2_b64 vcc, exec, s[38:39]
	s_cbranch_vccz .LBB13_31
.LBB13_19:                              ;   in Loop: Header=BB13_17 Depth=3
	s_and_b64 vcc, exec, s[6:7]
	ds_write_b32 v15, v2
	s_cbranch_vccz .LBB13_36
.LBB13_20:                              ;   in Loop: Header=BB13_17 Depth=3
	s_mov_b64 s[40:41], 0
	s_mov_b64 s[38:39], 0
                                        ; implicit-def: $vgpr2
	s_and_saveexec_b64 s[42:43], s[4:5]
	s_cbranch_execz .LBB13_24
; %bb.21:                               ;   in Loop: Header=BB13_17 Depth=3
	v_add_u32_e32 v3, s48, v1
	v_cmp_gt_i32_e32 vcc, s11, v3
                                        ; implicit-def: $vgpr2
	s_and_saveexec_b64 s[44:45], vcc
	s_xor_b64 s[44:45], exec, s[44:45]
; %bb.22:                               ;   in Loop: Header=BB13_17 Depth=3
	s_mov_b64 s[38:39], exec
	v_mul_lo_u32 v2, v3, s11
; %bb.23:                               ;   in Loop: Header=BB13_17 Depth=3
	s_or_b64 exec, exec, s[44:45]
	s_and_b64 s[38:39], s[38:39], exec
.LBB13_24:                              ;   in Loop: Header=BB13_17 Depth=3
	s_or_b64 exec, exec, s[42:43]
	s_and_b64 vcc, exec, s[40:41]
	s_cbranch_vccz .LBB13_37
.LBB13_25:                              ;   in Loop: Header=BB13_17 Depth=3
	v_add_u32_e32 v2, s48, v1
	v_cmp_gt_i32_e32 vcc, s11, v2
	v_mul_lo_u32 v3, v17, s11
	s_and_b64 s[40:41], s[4:5], vcc
	s_andn2_b64 s[38:39], s[38:39], exec
	s_and_b64 s[40:41], s[40:41], exec
	s_or_b64 s[38:39], s[38:39], s[40:41]
	v_mov_b32_e32 v4, 0
	s_and_saveexec_b64 s[40:41], s[38:39]
	s_cbranch_execz .LBB13_16
	s_branch .LBB13_38
.LBB13_26:                              ;   in Loop: Header=BB13_17 Depth=3
	v_mov_b32_e32 v2, 0
	s_and_saveexec_b64 s[38:39], s[0:1]
	s_cbranch_execz .LBB13_30
; %bb.27:                               ;   in Loop: Header=BB13_17 Depth=3
	v_add_u32_e32 v2, s48, v0
	v_cmp_gt_i32_e32 vcc, s11, v2
	v_mov_b32_e32 v2, 0
	s_and_saveexec_b64 s[40:41], vcc
	s_cbranch_execz .LBB13_29
; %bb.28:                               ;   in Loop: Header=BB13_17 Depth=3
	v_add_u32_e32 v2, s48, v18
	v_ashrrev_i32_e32 v4, 31, v2
	v_mul_lo_u32 v19, s23, v2
	v_mad_u64_u32 v[2:3], s[42:43], s22, v2, 0
	v_mul_lo_u32 v4, s22, v4
	v_add3_u32 v3, v3, v4, v19
	v_lshlrev_b64 v[2:3], 1, v[2:3]
	v_add_co_u32_e32 v2, vcc, v6, v2
	v_addc_co_u32_e32 v3, vcc, v7, v3, vcc
	global_load_ushort v2, v[2:3], off
	s_waitcnt vmcnt(0)
	v_cvt_f32_f16_e32 v2, v2
.LBB13_29:                              ;   in Loop: Header=BB13_17 Depth=3
	s_or_b64 exec, exec, s[40:41]
.LBB13_30:                              ;   in Loop: Header=BB13_17 Depth=3
	s_or_b64 exec, exec, s[38:39]
	s_cbranch_execnz .LBB13_19
.LBB13_31:                              ;   in Loop: Header=BB13_17 Depth=3
	v_mov_b32_e32 v2, 0
	s_and_saveexec_b64 s[38:39], s[0:1]
	s_cbranch_execz .LBB13_35
; %bb.32:                               ;   in Loop: Header=BB13_17 Depth=3
	v_add_u32_e32 v2, s48, v0
	v_cmp_gt_i32_e32 vcc, s11, v2
	v_mov_b32_e32 v2, 0
	s_and_saveexec_b64 s[40:41], vcc
	s_cbranch_execz .LBB13_34
; %bb.33:                               ;   in Loop: Header=BB13_17 Depth=3
	v_add_u32_e32 v2, s48, v18
	v_ashrrev_i32_e32 v3, 31, v2
	v_lshlrev_b64 v[2:3], 1, v[2:3]
	v_add_co_u32_e32 v2, vcc, v9, v2
	v_addc_co_u32_e32 v3, vcc, v10, v3, vcc
	global_load_ushort v2, v[2:3], off
	s_waitcnt vmcnt(0)
	v_cvt_f32_f16_e32 v2, v2
.LBB13_34:                              ;   in Loop: Header=BB13_17 Depth=3
	s_or_b64 exec, exec, s[40:41]
.LBB13_35:                              ;   in Loop: Header=BB13_17 Depth=3
	s_or_b64 exec, exec, s[38:39]
	s_and_b64 vcc, exec, s[6:7]
	ds_write_b32 v15, v2
	s_cbranch_vccnz .LBB13_20
.LBB13_36:                              ;   in Loop: Header=BB13_17 Depth=3
	s_mov_b64 s[38:39], 0
                                        ; implicit-def: $vgpr2
	s_cbranch_execnz .LBB13_25
.LBB13_37:                              ;   in Loop: Header=BB13_17 Depth=3
	v_mov_b32_e32 v3, v17
	v_mov_b32_e32 v4, 0
	s_and_saveexec_b64 s[40:41], s[38:39]
	s_cbranch_execz .LBB13_16
.LBB13_38:                              ;   in Loop: Header=BB13_17 Depth=3
	v_ashrrev_i32_e32 v4, 31, v3
	v_lshlrev_b64 v[3:4], 1, v[3:4]
	v_mov_b32_e32 v19, s47
	v_add_co_u32_e32 v20, vcc, s8, v3
	v_ashrrev_i32_e32 v3, 31, v2
	v_lshlrev_b64 v[2:3], 1, v[2:3]
	v_addc_co_u32_e32 v4, vcc, v19, v4, vcc
	v_add_co_u32_e32 v2, vcc, v20, v2
	v_addc_co_u32_e32 v3, vcc, v4, v3, vcc
	global_load_ushort v2, v[2:3], off
	s_waitcnt vmcnt(0)
	v_cvt_f32_f16_e32 v4, v2
	s_branch .LBB13_16
.LBB13_39:                              ;   in Loop: Header=BB13_12 Depth=1
	v_cmp_gt_i32_e32 vcc, s11, v17
	s_and_b64 s[12:13], s[20:21], vcc
	s_and_saveexec_b64 s[4:5], s[12:13]
	s_cbranch_execz .LBB13_11
; %bb.40:                               ;   in Loop: Header=BB13_12 Depth=1
	v_add_u32_e32 v2, s29, v17
	s_and_b64 vcc, exec, s[24:25]
	v_ashrrev_i32_e32 v3, 31, v2
	s_mov_b64 s[12:13], -1
	s_cbranch_vccz .LBB13_46
; %bb.41:                               ;   in Loop: Header=BB13_12 Depth=1
	s_and_b64 vcc, exec, s[26:27]
	s_cbranch_vccz .LBB13_43
; %bb.42:                               ;   in Loop: Header=BB13_12 Depth=1
	v_mul_lo_u32 v4, s15, v2
	v_mul_lo_u32 v19, s14, v3
	v_mad_u64_u32 v[17:18], s[12:13], s14, v2, 0
	s_mov_b64 s[12:13], 0
	v_add3_u32 v18, v18, v19, v4
	v_lshlrev_b64 v[17:18], 2, v[17:18]
	v_mul_f32_e32 v19, s10, v16
	v_add_co_u32_e32 v17, vcc, v11, v17
	v_addc_co_u32_e32 v18, vcc, v12, v18, vcc
	global_load_dword v4, v[17:18], off
	s_waitcnt vmcnt(0)
	v_fmac_f32_e32 v19, s28, v4
	global_store_dword v[17:18], v19, off
.LBB13_43:                              ;   in Loop: Header=BB13_12 Depth=1
	s_andn2_b64 vcc, exec, s[12:13]
	s_cbranch_vccnz .LBB13_45
; %bb.44:                               ;   in Loop: Header=BB13_12 Depth=1
	v_lshlrev_b64 v[17:18], 2, v[2:3]
	v_mul_f32_e32 v19, s10, v16
	v_add_co_u32_e32 v17, vcc, v13, v17
	v_addc_co_u32_e32 v18, vcc, v14, v18, vcc
	global_load_dword v4, v[17:18], off
	s_waitcnt vmcnt(0)
	v_fmac_f32_e32 v19, s28, v4
	global_store_dword v[17:18], v19, off
.LBB13_45:                              ;   in Loop: Header=BB13_12 Depth=1
	s_mov_b64 s[12:13], 0
.LBB13_46:                              ;   in Loop: Header=BB13_12 Depth=1
	s_andn2_b64 vcc, exec, s[12:13]
	s_cbranch_vccnz .LBB13_11
; %bb.47:                               ;   in Loop: Header=BB13_12 Depth=1
	v_mul_f32_e32 v4, s10, v16
	s_mov_b64 s[12:13], -1
	s_and_b64 vcc, exec, s[26:27]
	s_cbranch_vccz .LBB13_49
; %bb.48:                               ;   in Loop: Header=BB13_12 Depth=1
	v_mul_lo_u32 v18, s15, v2
	v_mul_lo_u32 v19, s14, v3
	v_mad_u64_u32 v[16:17], s[12:13], s14, v2, 0
	s_mov_b64 s[12:13], 0
	v_add3_u32 v17, v17, v19, v18
	v_lshlrev_b64 v[16:17], 2, v[16:17]
	v_add_co_u32_e32 v16, vcc, v11, v16
	v_addc_co_u32_e32 v17, vcc, v12, v17, vcc
	global_store_dword v[16:17], v4, off
.LBB13_49:                              ;   in Loop: Header=BB13_12 Depth=1
	s_andn2_b64 vcc, exec, s[12:13]
	s_cbranch_vccnz .LBB13_11
; %bb.50:                               ;   in Loop: Header=BB13_12 Depth=1
	v_lshlrev_b64 v[2:3], 2, v[2:3]
	v_add_co_u32_e32 v2, vcc, v13, v2
	v_addc_co_u32_e32 v3, vcc, v14, v3, vcc
	global_store_dword v[2:3], v4, off
	s_branch .LBB13_11
.LBB13_51:
	s_endpgm
	.section	.rodata,"a",@progbits
	.p2align	6, 0x0
	.amdhsa_kernel _ZN9rocsparseL29bsrmm_general_blockdim_kernelILj32ELj32EliDF16_DF16_ffEEvb20rocsparse_direction_T2_S2_llNS_24const_host_device_scalarIT6_EEPKT1_PKS2_PKT3_S2_PKT4_llS5_PT5_ll16rocsparse_order_21rocsparse_index_base_b
		.amdhsa_group_segment_fixed_size 8192
		.amdhsa_private_segment_fixed_size 0
		.amdhsa_kernarg_size 140
		.amdhsa_user_sgpr_count 6
		.amdhsa_user_sgpr_private_segment_buffer 1
		.amdhsa_user_sgpr_dispatch_ptr 0
		.amdhsa_user_sgpr_queue_ptr 0
		.amdhsa_user_sgpr_kernarg_segment_ptr 1
		.amdhsa_user_sgpr_dispatch_id 0
		.amdhsa_user_sgpr_flat_scratch_init 0
		.amdhsa_user_sgpr_private_segment_size 0
		.amdhsa_uses_dynamic_stack 0
		.amdhsa_system_sgpr_private_segment_wavefront_offset 0
		.amdhsa_system_sgpr_workgroup_id_x 1
		.amdhsa_system_sgpr_workgroup_id_y 1
		.amdhsa_system_sgpr_workgroup_id_z 0
		.amdhsa_system_sgpr_workgroup_info 0
		.amdhsa_system_vgpr_workitem_id 1
		.amdhsa_next_free_vgpr 39
		.amdhsa_next_free_sgpr 61
		.amdhsa_reserve_vcc 1
		.amdhsa_reserve_flat_scratch 0
		.amdhsa_float_round_mode_32 0
		.amdhsa_float_round_mode_16_64 0
		.amdhsa_float_denorm_mode_32 3
		.amdhsa_float_denorm_mode_16_64 3
		.amdhsa_dx10_clamp 1
		.amdhsa_ieee_mode 1
		.amdhsa_fp16_overflow 0
		.amdhsa_exception_fp_ieee_invalid_op 0
		.amdhsa_exception_fp_denorm_src 0
		.amdhsa_exception_fp_ieee_div_zero 0
		.amdhsa_exception_fp_ieee_overflow 0
		.amdhsa_exception_fp_ieee_underflow 0
		.amdhsa_exception_fp_ieee_inexact 0
		.amdhsa_exception_int_div_zero 0
	.end_amdhsa_kernel
	.section	.text._ZN9rocsparseL29bsrmm_general_blockdim_kernelILj32ELj32EliDF16_DF16_ffEEvb20rocsparse_direction_T2_S2_llNS_24const_host_device_scalarIT6_EEPKT1_PKS2_PKT3_S2_PKT4_llS5_PT5_ll16rocsparse_order_21rocsparse_index_base_b,"axG",@progbits,_ZN9rocsparseL29bsrmm_general_blockdim_kernelILj32ELj32EliDF16_DF16_ffEEvb20rocsparse_direction_T2_S2_llNS_24const_host_device_scalarIT6_EEPKT1_PKS2_PKT3_S2_PKT4_llS5_PT5_ll16rocsparse_order_21rocsparse_index_base_b,comdat
.Lfunc_end13:
	.size	_ZN9rocsparseL29bsrmm_general_blockdim_kernelILj32ELj32EliDF16_DF16_ffEEvb20rocsparse_direction_T2_S2_llNS_24const_host_device_scalarIT6_EEPKT1_PKS2_PKT3_S2_PKT4_llS5_PT5_ll16rocsparse_order_21rocsparse_index_base_b, .Lfunc_end13-_ZN9rocsparseL29bsrmm_general_blockdim_kernelILj32ELj32EliDF16_DF16_ffEEvb20rocsparse_direction_T2_S2_llNS_24const_host_device_scalarIT6_EEPKT1_PKS2_PKT3_S2_PKT4_llS5_PT5_ll16rocsparse_order_21rocsparse_index_base_b
                                        ; -- End function
	.set _ZN9rocsparseL29bsrmm_general_blockdim_kernelILj32ELj32EliDF16_DF16_ffEEvb20rocsparse_direction_T2_S2_llNS_24const_host_device_scalarIT6_EEPKT1_PKS2_PKT3_S2_PKT4_llS5_PT5_ll16rocsparse_order_21rocsparse_index_base_b.num_vgpr, 39
	.set _ZN9rocsparseL29bsrmm_general_blockdim_kernelILj32ELj32EliDF16_DF16_ffEEvb20rocsparse_direction_T2_S2_llNS_24const_host_device_scalarIT6_EEPKT1_PKS2_PKT3_S2_PKT4_llS5_PT5_ll16rocsparse_order_21rocsparse_index_base_b.num_agpr, 0
	.set _ZN9rocsparseL29bsrmm_general_blockdim_kernelILj32ELj32EliDF16_DF16_ffEEvb20rocsparse_direction_T2_S2_llNS_24const_host_device_scalarIT6_EEPKT1_PKS2_PKT3_S2_PKT4_llS5_PT5_ll16rocsparse_order_21rocsparse_index_base_b.numbered_sgpr, 49
	.set _ZN9rocsparseL29bsrmm_general_blockdim_kernelILj32ELj32EliDF16_DF16_ffEEvb20rocsparse_direction_T2_S2_llNS_24const_host_device_scalarIT6_EEPKT1_PKS2_PKT3_S2_PKT4_llS5_PT5_ll16rocsparse_order_21rocsparse_index_base_b.num_named_barrier, 0
	.set _ZN9rocsparseL29bsrmm_general_blockdim_kernelILj32ELj32EliDF16_DF16_ffEEvb20rocsparse_direction_T2_S2_llNS_24const_host_device_scalarIT6_EEPKT1_PKS2_PKT3_S2_PKT4_llS5_PT5_ll16rocsparse_order_21rocsparse_index_base_b.private_seg_size, 0
	.set _ZN9rocsparseL29bsrmm_general_blockdim_kernelILj32ELj32EliDF16_DF16_ffEEvb20rocsparse_direction_T2_S2_llNS_24const_host_device_scalarIT6_EEPKT1_PKS2_PKT3_S2_PKT4_llS5_PT5_ll16rocsparse_order_21rocsparse_index_base_b.uses_vcc, 1
	.set _ZN9rocsparseL29bsrmm_general_blockdim_kernelILj32ELj32EliDF16_DF16_ffEEvb20rocsparse_direction_T2_S2_llNS_24const_host_device_scalarIT6_EEPKT1_PKS2_PKT3_S2_PKT4_llS5_PT5_ll16rocsparse_order_21rocsparse_index_base_b.uses_flat_scratch, 0
	.set _ZN9rocsparseL29bsrmm_general_blockdim_kernelILj32ELj32EliDF16_DF16_ffEEvb20rocsparse_direction_T2_S2_llNS_24const_host_device_scalarIT6_EEPKT1_PKS2_PKT3_S2_PKT4_llS5_PT5_ll16rocsparse_order_21rocsparse_index_base_b.has_dyn_sized_stack, 0
	.set _ZN9rocsparseL29bsrmm_general_blockdim_kernelILj32ELj32EliDF16_DF16_ffEEvb20rocsparse_direction_T2_S2_llNS_24const_host_device_scalarIT6_EEPKT1_PKS2_PKT3_S2_PKT4_llS5_PT5_ll16rocsparse_order_21rocsparse_index_base_b.has_recursion, 0
	.set _ZN9rocsparseL29bsrmm_general_blockdim_kernelILj32ELj32EliDF16_DF16_ffEEvb20rocsparse_direction_T2_S2_llNS_24const_host_device_scalarIT6_EEPKT1_PKS2_PKT3_S2_PKT4_llS5_PT5_ll16rocsparse_order_21rocsparse_index_base_b.has_indirect_call, 0
	.section	.AMDGPU.csdata,"",@progbits
; Kernel info:
; codeLenInByte = 1936
; TotalNumSgprs: 53
; NumVgprs: 39
; ScratchSize: 0
; MemoryBound: 0
; FloatMode: 240
; IeeeMode: 1
; LDSByteSize: 8192 bytes/workgroup (compile time only)
; SGPRBlocks: 8
; VGPRBlocks: 9
; NumSGPRsForWavesPerEU: 65
; NumVGPRsForWavesPerEU: 39
; Occupancy: 6
; WaveLimiterHint : 1
; COMPUTE_PGM_RSRC2:SCRATCH_EN: 0
; COMPUTE_PGM_RSRC2:USER_SGPR: 6
; COMPUTE_PGM_RSRC2:TRAP_HANDLER: 0
; COMPUTE_PGM_RSRC2:TGID_X_EN: 1
; COMPUTE_PGM_RSRC2:TGID_Y_EN: 1
; COMPUTE_PGM_RSRC2:TGID_Z_EN: 0
; COMPUTE_PGM_RSRC2:TIDIG_COMP_CNT: 1
	.section	.text._ZN9rocsparseL29bsrmm_general_blockdim_kernelILj32ELj32EllDF16_DF16_ffEEvb20rocsparse_direction_T2_S2_llNS_24const_host_device_scalarIT6_EEPKT1_PKS2_PKT3_S2_PKT4_llS5_PT5_ll16rocsparse_order_21rocsparse_index_base_b,"axG",@progbits,_ZN9rocsparseL29bsrmm_general_blockdim_kernelILj32ELj32EllDF16_DF16_ffEEvb20rocsparse_direction_T2_S2_llNS_24const_host_device_scalarIT6_EEPKT1_PKS2_PKT3_S2_PKT4_llS5_PT5_ll16rocsparse_order_21rocsparse_index_base_b,comdat
	.globl	_ZN9rocsparseL29bsrmm_general_blockdim_kernelILj32ELj32EllDF16_DF16_ffEEvb20rocsparse_direction_T2_S2_llNS_24const_host_device_scalarIT6_EEPKT1_PKS2_PKT3_S2_PKT4_llS5_PT5_ll16rocsparse_order_21rocsparse_index_base_b ; -- Begin function _ZN9rocsparseL29bsrmm_general_blockdim_kernelILj32ELj32EllDF16_DF16_ffEEvb20rocsparse_direction_T2_S2_llNS_24const_host_device_scalarIT6_EEPKT1_PKS2_PKT3_S2_PKT4_llS5_PT5_ll16rocsparse_order_21rocsparse_index_base_b
	.p2align	8
	.type	_ZN9rocsparseL29bsrmm_general_blockdim_kernelILj32ELj32EllDF16_DF16_ffEEvb20rocsparse_direction_T2_S2_llNS_24const_host_device_scalarIT6_EEPKT1_PKS2_PKT3_S2_PKT4_llS5_PT5_ll16rocsparse_order_21rocsparse_index_base_b,@function
_ZN9rocsparseL29bsrmm_general_blockdim_kernelILj32ELj32EllDF16_DF16_ffEEvb20rocsparse_direction_T2_S2_llNS_24const_host_device_scalarIT6_EEPKT1_PKS2_PKT3_S2_PKT4_llS5_PT5_ll16rocsparse_order_21rocsparse_index_base_b: ; @_ZN9rocsparseL29bsrmm_general_blockdim_kernelILj32ELj32EllDF16_DF16_ffEEvb20rocsparse_direction_T2_S2_llNS_24const_host_device_scalarIT6_EEPKT1_PKS2_PKT3_S2_PKT4_llS5_PT5_ll16rocsparse_order_21rocsparse_index_base_b
; %bb.0:
	s_load_dwordx4 s[16:19], s[4:5], 0x88
	s_mov_b32 s0, s7
	v_mov_b32_e32 v2, v1
	s_waitcnt lgkmcnt(0)
	s_bitcmp1_b32 s18, 0
	s_load_dwordx2 s[18:19], s[4:5], 0x28
	s_load_dwordx2 s[28:29], s[4:5], 0x68
	s_cselect_b64 s[8:9], -1, 0
	s_xor_b64 s[2:3], s[8:9], -1
	s_and_b64 vcc, exec, s[8:9]
	s_cbranch_vccnz .LBB14_2
; %bb.1:
	s_waitcnt lgkmcnt(0)
	s_load_dword s18, s[18:19], 0x0
.LBB14_2:
	s_andn2_b64 vcc, exec, s[2:3]
	s_cbranch_vccnz .LBB14_4
; %bb.3:
	s_waitcnt lgkmcnt(0)
	s_load_dword s28, s[28:29], 0x0
.LBB14_4:
	s_waitcnt lgkmcnt(0)
	v_cmp_eq_f32_e64 s[2:3], s18, 0
	v_cmp_eq_f32_e64 s[8:9], s28, 1.0
	s_and_b64 s[2:3], s[2:3], s[8:9]
	s_and_b64 vcc, exec, s[2:3]
	s_cbranch_vccnz .LBB14_53
; %bb.5:
	s_load_dwordx4 s[24:27], s[4:5], 0x8
	s_load_dwordx2 s[8:9], s[4:5], 0x30
	s_ashr_i32 s7, s6, 31
	v_mov_b32_e32 v3, s6
	v_mov_b32_e32 v4, s7
	s_waitcnt lgkmcnt(0)
	v_cmp_le_i64_e32 vcc, s[24:25], v[3:4]
	v_cmp_gt_i64_e64 s[2:3], s[24:25], v[3:4]
	s_mov_b64 s[30:31], 0
	s_mov_b64 s[24:25], 0
	s_cbranch_vccz .LBB14_8
; %bb.6:
	s_andn2_b64 vcc, exec, s[2:3]
	s_cbranch_vccz .LBB14_9
.LBB14_7:
	s_load_dwordx2 s[34:35], s[4:5], 0x48
	s_waitcnt lgkmcnt(0)
	v_cmp_lt_i64_e64 s[8:9], s[34:35], 1
	s_and_b64 vcc, exec, s[8:9]
	s_cbranch_vccz .LBB14_10
	s_branch .LBB14_53
.LBB14_8:
	s_lshl_b64 s[10:11], s[6:7], 3
	s_add_u32 s10, s8, s10
	s_addc_u32 s11, s9, s11
	s_load_dwordx2 s[10:11], s[10:11], 0x0
	s_waitcnt lgkmcnt(0)
	s_sub_u32 s24, s10, s17
	s_subb_u32 s25, s11, 0
	s_andn2_b64 vcc, exec, s[2:3]
	s_cbranch_vccnz .LBB14_7
.LBB14_9:
	s_lshl_b64 s[10:11], s[6:7], 3
	s_add_u32 s8, s8, s10
	s_addc_u32 s9, s9, s11
	s_load_dwordx2 s[8:9], s[8:9], 0x8
	s_waitcnt lgkmcnt(0)
	s_sub_u32 s30, s8, s17
	s_subb_u32 s31, s9, 0
	s_load_dwordx2 s[34:35], s[4:5], 0x48
	s_waitcnt lgkmcnt(0)
	v_cmp_lt_i64_e64 s[8:9], s[34:35], 1
	s_and_b64 vcc, exec, s[8:9]
	s_cbranch_vccnz .LBB14_53
.LBB14_10:
	s_load_dwordx4 s[8:11], s[4:5], 0x70
	s_load_dwordx4 s[20:23], s[4:5], 0x50
	;; [unrolled: 1-line block ×3, first 2 shown]
	s_load_dwordx2 s[38:39], s[4:5], 0x0
	v_lshl_add_u32 v9, s0, 5, v2
	v_mov_b32_e32 v10, 0
	v_lshlrev_b64 v[3:4], 2, v[9:10]
	s_waitcnt lgkmcnt(0)
	v_mov_b32_e32 v1, s9
	v_add_co_u32_e32 v25, vcc, s8, v3
	s_bitcmp1_b32 s38, 0
	v_addc_co_u32_e32 v26, vcc, v1, v4, vcc
	s_cselect_b64 s[0:1], -1, 0
	v_mad_u64_u32 v[3:4], s[4:5], s10, v9, 0
	s_xor_b64 s[36:37], s[0:1], -1
	s_mul_i32 s0, s35, s6
	s_mul_hi_u32 s1, s34, s6
	s_add_i32 s19, s1, s0
	v_cmp_gt_i64_e64 s[0:1], s[26:27], v[9:10]
	s_cmp_lg_u32 s39, 0
	s_cselect_b64 s[26:27], -1, 0
	s_and_b64 s[38:39], s[2:3], s[0:1]
	v_mad_u64_u32 v[4:5], s[2:3], s11, v9, v[4:5]
	v_mad_u64_u32 v[5:6], s[2:3], s22, v9, 0
	v_lshlrev_b64 v[3:4], 2, v[3:4]
	v_mov_b32_e32 v8, s9
	v_mad_u64_u32 v[6:7], s[2:3], s23, v9, v[6:7]
	v_add_co_u32_e32 v29, vcc, s8, v3
	v_addc_co_u32_e32 v30, vcc, v8, v4, vcc
	v_lshlrev_b64 v[3:4], 1, v[5:6]
	v_lshlrev_b32_e32 v13, 1, v0
	s_cmp_lg_u32 s16, 1
	v_add_co_u32_e32 v3, vcc, v3, v13
	s_mul_i32 s2, s24, s35
	s_mul_hi_u32 s3, s24, s34
	s_mov_b32 s33, s17
	s_cselect_b64 s[16:17], -1, 0
	v_addc_co_u32_e32 v4, vcc, 0, v4, vcc
	s_add_i32 s2, s3, s2
	s_mul_i32 s3, s25, s34
	v_mov_b32_e32 v5, s21
	v_add_co_u32_e32 v3, vcc, s20, v3
	s_add_i32 s3, s2, s3
	s_mul_i32 s2, s24, s34
	v_addc_co_u32_e32 v4, vcc, v5, v4, vcc
	s_lshl_b64 s[2:3], s[2:3], 1
	v_mov_b32_e32 v17, s3
	v_add_co_u32_e32 v7, vcc, s2, v13
	v_lshlrev_b64 v[5:6], 1, v[9:10]
	v_addc_co_u32_e32 v8, vcc, 0, v17, vcc
	v_lshlrev_b32_e32 v9, 1, v2
	v_mul_lo_u32 v18, s34, v8
	v_mul_lo_u32 v19, s35, v7
	v_mad_u64_u32 v[7:8], s[4:5], s34, v7, v[9:10]
	v_mov_b32_e32 v16, s21
	v_add_co_u32_e32 v5, vcc, s20, v5
	v_addc_co_u32_e32 v6, vcc, v16, v6, vcc
	v_mov_b32_e32 v1, v10
	v_mov_b32_e32 v14, v10
	v_add3_u32 v8, v19, v8, v18
	v_mov_b32_e32 v10, s15
	v_add_co_u32_e32 v7, vcc, s14, v7
	v_addc_co_u32_e32 v8, vcc, v10, v8, vcc
	v_add_co_u32_e32 v9, vcc, s2, v9
	s_mul_i32 s4, s34, s35
	s_mul_hi_u32 s3, s34, s34
	v_addc_co_u32_e32 v10, vcc, 0, v17, vcc
	s_add_i32 s5, s3, s4
	v_mul_lo_u32 v16, s34, v10
	v_mul_lo_u32 v17, s35, v9
	v_mad_u64_u32 v[9:10], s[2:3], s34, v9, v[13:14]
	v_mov_b32_e32 v11, s30
	v_mov_b32_e32 v12, s31
	v_lshlrev_b32_e32 v27, 2, v0
	s_add_i32 s3, s5, s4
	s_mul_i32 s2, s34, s34
	v_or_b32_e32 v15, 0x1000, v27
	v_lshlrev_b32_e32 v28, 7, v2
	s_lshl_b64 s[44:45], s[2:3], 1
	v_add3_u32 v10, v17, v10, v16
	v_mov_b32_e32 v13, s15
	v_add_co_u32_e32 v9, vcc, s14, v9
	v_cmp_lt_i64_e64 s[2:3], s[24:25], v[11:12]
	s_mul_i32 s29, s34, s6
	v_cmp_neq_f32_e64 s[40:41], s28, 0
	s_lshl_b64 s[8:9], s[34:35], 1
	s_lshl_b64 s[20:21], s[22:23], 1
	;; [unrolled: 1-line block ×4, first 2 shown]
	v_addc_co_u32_e32 v10, vcc, v13, v10, vcc
	s_mov_b64 s[14:15], 0
	v_add_u32_e32 v31, v15, v28
	s_branch .LBB14_12
.LBB14_11:                              ;   in Loop: Header=BB14_12 Depth=1
	s_or_b64 exec, exec, s[4:5]
	v_mov_b32_e32 v11, s43
	v_add_co_u32_e32 v7, vcc, s42, v7
	s_add_u32 s14, s14, 32
	v_addc_co_u32_e32 v8, vcc, v8, v11, vcc
	v_mov_b32_e32 v11, s34
	s_addc_u32 s15, s15, 0
	v_mov_b32_e32 v12, s35
	v_cmp_lt_i64_e32 vcc, s[14:15], v[11:12]
	v_add_co_u32_e64 v9, s[4:5], 64, v9
	v_addc_co_u32_e64 v10, s[4:5], 0, v10, s[4:5]
	s_cbranch_vccz .LBB14_53
.LBB14_12:                              ; =>This Loop Header: Depth=1
                                        ;     Child Loop BB14_15 Depth 2
                                        ;       Child Loop BB14_19 Depth 3
	v_mov_b32_e32 v12, s15
	v_add_co_u32_e32 v11, vcc, s14, v0
	v_addc_co_u32_e32 v12, vcc, 0, v12, vcc
	v_cmp_gt_i64_e64 s[4:5], s[34:35], v[11:12]
	s_andn2_b64 vcc, exec, s[2:3]
	v_mov_b32_e32 v32, 0
	s_cbranch_vccnz .LBB14_41
; %bb.13:                               ;   in Loop: Header=BB14_12 Depth=1
	v_mov_b32_e32 v14, v10
	v_mov_b32_e32 v16, v8
	;; [unrolled: 1-line block ×5, first 2 shown]
	s_mov_b64 s[46:47], s[24:25]
	s_branch .LBB14_15
.LBB14_14:                              ;   in Loop: Header=BB14_15 Depth=2
	s_add_u32 s46, s46, 1
	v_mov_b32_e32 v19, s45
	v_add_co_u32_e32 v15, vcc, s44, v15
	v_mov_b32_e32 v17, s30
	s_addc_u32 s47, s47, 0
	v_addc_co_u32_e32 v16, vcc, v16, v19, vcc
	v_mov_b32_e32 v18, s31
	v_cmp_ge_i64_e32 vcc, s[46:47], v[17:18]
	v_add_co_u32_e64 v13, s[6:7], s44, v13
	v_addc_co_u32_e64 v14, s[6:7], v14, v19, s[6:7]
	s_cbranch_vccnz .LBB14_41
.LBB14_15:                              ;   Parent Loop BB14_12 Depth=1
                                        ; =>  This Loop Header: Depth=2
                                        ;       Child Loop BB14_19 Depth 3
	s_lshl_b64 s[6:7], s[46:47], 3
	s_add_u32 s6, s12, s6
	s_addc_u32 s7, s13, s7
	s_load_dwordx2 s[6:7], s[6:7], 0x0
	v_mov_b32_e32 v19, s34
	v_mov_b32_e32 v24, v16
	;; [unrolled: 1-line block ×3, first 2 shown]
	s_waitcnt lgkmcnt(0)
	s_sub_u32 s48, s6, s33
	s_subb_u32 s49, s7, 0
	v_mov_b32_e32 v17, s48
	v_mad_u64_u32 v[19:20], s[6:7], s48, v19, v[0:1]
	v_mad_u64_u32 v[17:18], s[6:7], s8, v17, v[3:4]
	s_mul_i32 s6, s49, s34
	s_mul_i32 s7, s48, s35
	s_add_i32 s7, s7, s6
	v_add_u32_e32 v20, s7, v20
	v_mul_lo_u32 v21, s20, v20
	v_mul_lo_u32 v22, s21, v19
	v_mad_u64_u32 v[19:20], s[6:7], s20, v19, v[5:6]
	s_mul_i32 s50, s9, s48
	s_mul_i32 s6, s8, s49
	s_add_i32 s6, s6, s50
	v_add3_u32 v20, v22, v20, v21
	v_mov_b32_e32 v22, v14
	v_add_u32_e32 v18, s6, v18
	s_mov_b64 s[48:49], 0
	v_mov_b32_e32 v21, v13
	s_branch .LBB14_19
.LBB14_16:                              ;   in Loop: Header=BB14_19 Depth=3
	s_or_b64 exec, exec, s[50:51]
.LBB14_17:                              ;   in Loop: Header=BB14_19 Depth=3
	s_or_b64 exec, exec, s[6:7]
.LBB14_18:                              ;   in Loop: Header=BB14_19 Depth=3
	v_add_u32_e32 v34, v27, v28
	ds_write_b32 v34, v33
	s_waitcnt vmcnt(0) lgkmcnt(0)
	s_barrier
	ds_read2_b32 v[49:50], v27 offset1:32
	ds_read_b128 v[33:36], v28 offset:4096
	ds_read_b128 v[37:40], v28 offset:4112
	ds_read2_b32 v[51:52], v27 offset0:64 offset1:96
	ds_read_b128 v[41:44], v28 offset:4128
	ds_read_b128 v[45:48], v28 offset:4144
	ds_read2_b32 v[53:54], v27 offset0:128 offset1:160
	s_waitcnt lgkmcnt(5)
	v_fmac_f32_e32 v32, v49, v33
	v_fmac_f32_e32 v32, v50, v34
	ds_read2_b32 v[33:34], v27 offset0:192 offset1:224
	s_waitcnt lgkmcnt(4)
	v_fmac_f32_e32 v32, v51, v35
	v_fmac_f32_e32 v32, v52, v36
	s_waitcnt lgkmcnt(1)
	v_fmac_f32_e32 v32, v53, v37
	v_add_u32_e32 v49, 0x400, v27
	ds_read2_b32 v[35:36], v49 offset1:32
	v_fmac_f32_e32 v32, v54, v38
	s_waitcnt lgkmcnt(1)
	v_fmac_f32_e32 v32, v33, v39
	v_fmac_f32_e32 v32, v34, v40
	ds_read2_b32 v[33:34], v49 offset0:64 offset1:96
	ds_read2_b32 v[37:38], v49 offset0:128 offset1:160
	s_waitcnt lgkmcnt(2)
	v_fmac_f32_e32 v32, v35, v41
	v_fmac_f32_e32 v32, v36, v42
	ds_read2_b32 v[39:40], v49 offset0:192 offset1:224
	s_waitcnt lgkmcnt(2)
	v_fmac_f32_e32 v32, v33, v43
	v_fmac_f32_e32 v32, v34, v44
	s_waitcnt lgkmcnt(1)
	v_fmac_f32_e32 v32, v37, v45
	v_fmac_f32_e32 v32, v38, v46
	s_waitcnt lgkmcnt(0)
	v_fmac_f32_e32 v32, v39, v47
	v_add_u32_e32 v47, 0x800, v27
	ds_read2_b32 v[41:42], v47 offset1:32
	ds_read_b128 v[33:36], v28 offset:4160
	v_fmac_f32_e32 v32, v40, v48
	ds_read2_b32 v[43:44], v47 offset0:64 offset1:96
	ds_read2_b32 v[45:46], v47 offset0:128 offset1:160
	ds_read_b128 v[37:40], v28 offset:4176
	v_add_co_u32_e32 v17, vcc, 64, v17
	s_waitcnt lgkmcnt(3)
	v_fmac_f32_e32 v32, v41, v33
	v_fmac_f32_e32 v32, v42, v34
	ds_read2_b32 v[41:42], v47 offset0:192 offset1:224
	s_waitcnt lgkmcnt(3)
	v_fmac_f32_e32 v32, v43, v35
	v_fmac_f32_e32 v32, v44, v36
	v_add_u32_e32 v47, 0xc00, v27
	s_waitcnt lgkmcnt(1)
	v_fmac_f32_e32 v32, v45, v37
	ds_read2_b32 v[43:44], v47 offset1:32
	ds_read_b128 v[33:36], v28 offset:4192
	v_fmac_f32_e32 v32, v46, v38
	s_waitcnt lgkmcnt(2)
	v_fmac_f32_e32 v32, v41, v39
	v_fmac_f32_e32 v32, v42, v40
	ds_read2_b32 v[41:42], v47 offset0:64 offset1:96
	ds_read_b128 v[37:40], v28 offset:4208
	ds_read2_b32 v[45:46], v47 offset0:128 offset1:160
	s_waitcnt lgkmcnt(3)
	v_fmac_f32_e32 v32, v43, v33
	v_fmac_f32_e32 v32, v44, v34
	ds_read2_b32 v[33:34], v47 offset0:192 offset1:224
	s_waitcnt lgkmcnt(3)
	v_fmac_f32_e32 v32, v41, v35
	v_fmac_f32_e32 v32, v42, v36
	s_waitcnt lgkmcnt(1)
	v_fmac_f32_e32 v32, v45, v37
	v_fmac_f32_e32 v32, v46, v38
	v_addc_co_u32_e32 v18, vcc, 0, v18, vcc
	s_waitcnt lgkmcnt(0)
	v_fmac_f32_e32 v32, v33, v39
	v_mov_b32_e32 v33, s23
	v_add_co_u32_e32 v19, vcc, s22, v19
	v_addc_co_u32_e32 v20, vcc, v20, v33, vcc
	v_fmac_f32_e32 v32, v34, v40
	s_add_u32 s48, s48, 32
	v_add_co_u32_e32 v23, vcc, 64, v23
	v_mov_b32_e32 v33, s34
	s_addc_u32 s49, s49, 0
	v_addc_co_u32_e32 v24, vcc, 0, v24, vcc
	v_mov_b32_e32 v34, s35
	v_cmp_ge_i64_e32 vcc, s[48:49], v[33:34]
	v_mov_b32_e32 v35, s43
	v_add_co_u32_e64 v21, s[6:7], s42, v21
	v_addc_co_u32_e64 v22, s[6:7], v22, v35, s[6:7]
	s_barrier
	s_cbranch_vccnz .LBB14_14
.LBB14_19:                              ;   Parent Loop BB14_12 Depth=1
                                        ;     Parent Loop BB14_15 Depth=2
                                        ; =>    This Inner Loop Header: Depth=3
	s_mov_b64 s[6:7], -1
	s_and_b64 vcc, exec, s[36:37]
                                        ; implicit-def: $vgpr33
	s_cbranch_vccnz .LBB14_27
; %bb.20:                               ;   in Loop: Header=BB14_19 Depth=3
	s_andn2_b64 vcc, exec, s[6:7]
	s_cbranch_vccz .LBB14_32
.LBB14_21:                              ;   in Loop: Header=BB14_19 Depth=3
	s_and_b64 vcc, exec, s[26:27]
	ds_write_b32 v31, v33
	s_cbranch_vccz .LBB14_37
.LBB14_22:                              ;   in Loop: Header=BB14_19 Depth=3
	v_mov_b32_e32 v33, 0
	s_and_saveexec_b64 s[6:7], s[4:5]
	s_cbranch_execz .LBB14_26
; %bb.23:                               ;   in Loop: Header=BB14_19 Depth=3
	v_mov_b32_e32 v34, s49
	v_add_co_u32_e32 v33, vcc, s48, v2
	v_addc_co_u32_e32 v34, vcc, 0, v34, vcc
	v_cmp_gt_i64_e32 vcc, s[34:35], v[33:34]
	v_mov_b32_e32 v33, 0
	s_and_saveexec_b64 s[50:51], vcc
	s_cbranch_execz .LBB14_25
; %bb.24:                               ;   in Loop: Header=BB14_19 Depth=3
	global_load_ushort v33, v[21:22], off
	s_waitcnt vmcnt(0)
	v_cvt_f32_f16_e32 v33, v33
.LBB14_25:                              ;   in Loop: Header=BB14_19 Depth=3
	s_or_b64 exec, exec, s[50:51]
.LBB14_26:                              ;   in Loop: Header=BB14_19 Depth=3
	s_or_b64 exec, exec, s[6:7]
	s_cbranch_execnz .LBB14_18
	s_branch .LBB14_38
.LBB14_27:                              ;   in Loop: Header=BB14_19 Depth=3
	v_mov_b32_e32 v33, 0
	s_and_saveexec_b64 s[6:7], s[0:1]
	s_cbranch_execz .LBB14_31
; %bb.28:                               ;   in Loop: Header=BB14_19 Depth=3
	v_mov_b32_e32 v34, s49
	v_add_co_u32_e32 v33, vcc, s48, v0
	v_addc_co_u32_e32 v34, vcc, 0, v34, vcc
	v_cmp_gt_i64_e32 vcc, s[34:35], v[33:34]
	v_mov_b32_e32 v33, 0
	s_and_saveexec_b64 s[50:51], vcc
	s_cbranch_execz .LBB14_30
; %bb.29:                               ;   in Loop: Header=BB14_19 Depth=3
	global_load_ushort v33, v[19:20], off
	s_waitcnt vmcnt(0)
	v_cvt_f32_f16_e32 v33, v33
.LBB14_30:                              ;   in Loop: Header=BB14_19 Depth=3
	s_or_b64 exec, exec, s[50:51]
.LBB14_31:                              ;   in Loop: Header=BB14_19 Depth=3
	s_or_b64 exec, exec, s[6:7]
	s_cbranch_execnz .LBB14_21
.LBB14_32:                              ;   in Loop: Header=BB14_19 Depth=3
	v_mov_b32_e32 v33, 0
	s_and_saveexec_b64 s[6:7], s[0:1]
	s_cbranch_execz .LBB14_36
; %bb.33:                               ;   in Loop: Header=BB14_19 Depth=3
	v_mov_b32_e32 v34, s49
	v_add_co_u32_e32 v33, vcc, s48, v0
	v_addc_co_u32_e32 v34, vcc, 0, v34, vcc
	v_cmp_gt_i64_e32 vcc, s[34:35], v[33:34]
	v_mov_b32_e32 v33, 0
	s_and_saveexec_b64 s[50:51], vcc
	s_cbranch_execz .LBB14_35
; %bb.34:                               ;   in Loop: Header=BB14_19 Depth=3
	global_load_ushort v33, v[17:18], off
	s_waitcnt vmcnt(0)
	v_cvt_f32_f16_e32 v33, v33
.LBB14_35:                              ;   in Loop: Header=BB14_19 Depth=3
	s_or_b64 exec, exec, s[50:51]
.LBB14_36:                              ;   in Loop: Header=BB14_19 Depth=3
	s_or_b64 exec, exec, s[6:7]
	s_and_b64 vcc, exec, s[26:27]
	ds_write_b32 v31, v33
	s_cbranch_vccnz .LBB14_22
.LBB14_37:                              ;   in Loop: Header=BB14_19 Depth=3
                                        ; implicit-def: $vgpr33
.LBB14_38:                              ;   in Loop: Header=BB14_19 Depth=3
	v_mov_b32_e32 v33, 0
	s_and_saveexec_b64 s[6:7], s[4:5]
	s_cbranch_execz .LBB14_17
; %bb.39:                               ;   in Loop: Header=BB14_19 Depth=3
	v_mov_b32_e32 v34, s49
	v_add_co_u32_e32 v33, vcc, s48, v2
	v_addc_co_u32_e32 v34, vcc, 0, v34, vcc
	v_cmp_gt_i64_e32 vcc, s[34:35], v[33:34]
	v_mov_b32_e32 v33, 0
	s_and_saveexec_b64 s[50:51], vcc
	s_cbranch_execz .LBB14_16
; %bb.40:                               ;   in Loop: Header=BB14_19 Depth=3
	global_load_ushort v33, v[23:24], off
	s_waitcnt vmcnt(0)
	v_cvt_f32_f16_e32 v33, v33
	s_branch .LBB14_16
.LBB14_41:                              ;   in Loop: Header=BB14_12 Depth=1
	v_cmp_gt_i64_e32 vcc, s[34:35], v[11:12]
	s_and_b64 s[6:7], s[38:39], vcc
	s_and_saveexec_b64 s[4:5], s[6:7]
	s_cbranch_execz .LBB14_11
; %bb.42:                               ;   in Loop: Header=BB14_12 Depth=1
	v_mov_b32_e32 v13, s19
	v_add_co_u32_e32 v11, vcc, s29, v11
	v_addc_co_u32_e32 v12, vcc, v12, v13, vcc
	s_mov_b64 s[6:7], -1
	s_and_b64 vcc, exec, s[40:41]
	s_cbranch_vccz .LBB14_48
; %bb.43:                               ;   in Loop: Header=BB14_12 Depth=1
	s_and_b64 vcc, exec, s[16:17]
	s_cbranch_vccz .LBB14_45
; %bb.44:                               ;   in Loop: Header=BB14_12 Depth=1
	v_mul_lo_u32 v15, v12, s10
	v_mul_lo_u32 v16, v11, s11
	v_mad_u64_u32 v[13:14], s[6:7], v11, s10, 0
	s_mov_b64 s[6:7], 0
	v_add3_u32 v14, v14, v16, v15
	v_lshlrev_b64 v[13:14], 2, v[13:14]
	v_mul_f32_e32 v16, s18, v32
	v_add_co_u32_e32 v13, vcc, v25, v13
	v_addc_co_u32_e32 v14, vcc, v26, v14, vcc
	global_load_dword v15, v[13:14], off
	s_waitcnt vmcnt(0)
	v_fmac_f32_e32 v16, s28, v15
	global_store_dword v[13:14], v16, off
.LBB14_45:                              ;   in Loop: Header=BB14_12 Depth=1
	s_andn2_b64 vcc, exec, s[6:7]
	s_cbranch_vccnz .LBB14_47
; %bb.46:                               ;   in Loop: Header=BB14_12 Depth=1
	v_lshlrev_b64 v[13:14], 2, v[11:12]
	v_mul_f32_e32 v16, s18, v32
	v_add_co_u32_e32 v13, vcc, v29, v13
	v_addc_co_u32_e32 v14, vcc, v30, v14, vcc
	global_load_dword v15, v[13:14], off
	s_waitcnt vmcnt(0)
	v_fmac_f32_e32 v16, s28, v15
	global_store_dword v[13:14], v16, off
.LBB14_47:                              ;   in Loop: Header=BB14_12 Depth=1
	s_mov_b64 s[6:7], 0
.LBB14_48:                              ;   in Loop: Header=BB14_12 Depth=1
	s_andn2_b64 vcc, exec, s[6:7]
	s_cbranch_vccnz .LBB14_11
; %bb.49:                               ;   in Loop: Header=BB14_12 Depth=1
	v_mul_f32_e32 v13, s18, v32
	s_mov_b64 s[6:7], -1
	s_and_b64 vcc, exec, s[16:17]
	s_cbranch_vccz .LBB14_51
; %bb.50:                               ;   in Loop: Header=BB14_12 Depth=1
	v_mul_lo_u32 v16, v12, s10
	v_mul_lo_u32 v17, v11, s11
	v_mad_u64_u32 v[14:15], s[6:7], v11, s10, 0
	s_mov_b64 s[6:7], 0
	v_add3_u32 v15, v15, v17, v16
	v_lshlrev_b64 v[14:15], 2, v[14:15]
	v_add_co_u32_e32 v14, vcc, v25, v14
	v_addc_co_u32_e32 v15, vcc, v26, v15, vcc
	global_store_dword v[14:15], v13, off
.LBB14_51:                              ;   in Loop: Header=BB14_12 Depth=1
	s_andn2_b64 vcc, exec, s[6:7]
	s_cbranch_vccnz .LBB14_11
; %bb.52:                               ;   in Loop: Header=BB14_12 Depth=1
	v_lshlrev_b64 v[11:12], 2, v[11:12]
	v_add_co_u32_e32 v11, vcc, v29, v11
	v_addc_co_u32_e32 v12, vcc, v30, v12, vcc
	global_store_dword v[11:12], v13, off
	s_branch .LBB14_11
.LBB14_53:
	s_endpgm
	.section	.rodata,"a",@progbits
	.p2align	6, 0x0
	.amdhsa_kernel _ZN9rocsparseL29bsrmm_general_blockdim_kernelILj32ELj32EllDF16_DF16_ffEEvb20rocsparse_direction_T2_S2_llNS_24const_host_device_scalarIT6_EEPKT1_PKS2_PKT3_S2_PKT4_llS5_PT5_ll16rocsparse_order_21rocsparse_index_base_b
		.amdhsa_group_segment_fixed_size 8192
		.amdhsa_private_segment_fixed_size 0
		.amdhsa_kernarg_size 148
		.amdhsa_user_sgpr_count 6
		.amdhsa_user_sgpr_private_segment_buffer 1
		.amdhsa_user_sgpr_dispatch_ptr 0
		.amdhsa_user_sgpr_queue_ptr 0
		.amdhsa_user_sgpr_kernarg_segment_ptr 1
		.amdhsa_user_sgpr_dispatch_id 0
		.amdhsa_user_sgpr_flat_scratch_init 0
		.amdhsa_user_sgpr_private_segment_size 0
		.amdhsa_uses_dynamic_stack 0
		.amdhsa_system_sgpr_private_segment_wavefront_offset 0
		.amdhsa_system_sgpr_workgroup_id_x 1
		.amdhsa_system_sgpr_workgroup_id_y 1
		.amdhsa_system_sgpr_workgroup_id_z 0
		.amdhsa_system_sgpr_workgroup_info 0
		.amdhsa_system_vgpr_workitem_id 1
		.amdhsa_next_free_vgpr 55
		.amdhsa_next_free_sgpr 61
		.amdhsa_reserve_vcc 1
		.amdhsa_reserve_flat_scratch 0
		.amdhsa_float_round_mode_32 0
		.amdhsa_float_round_mode_16_64 0
		.amdhsa_float_denorm_mode_32 3
		.amdhsa_float_denorm_mode_16_64 3
		.amdhsa_dx10_clamp 1
		.amdhsa_ieee_mode 1
		.amdhsa_fp16_overflow 0
		.amdhsa_exception_fp_ieee_invalid_op 0
		.amdhsa_exception_fp_denorm_src 0
		.amdhsa_exception_fp_ieee_div_zero 0
		.amdhsa_exception_fp_ieee_overflow 0
		.amdhsa_exception_fp_ieee_underflow 0
		.amdhsa_exception_fp_ieee_inexact 0
		.amdhsa_exception_int_div_zero 0
	.end_amdhsa_kernel
	.section	.text._ZN9rocsparseL29bsrmm_general_blockdim_kernelILj32ELj32EllDF16_DF16_ffEEvb20rocsparse_direction_T2_S2_llNS_24const_host_device_scalarIT6_EEPKT1_PKS2_PKT3_S2_PKT4_llS5_PT5_ll16rocsparse_order_21rocsparse_index_base_b,"axG",@progbits,_ZN9rocsparseL29bsrmm_general_blockdim_kernelILj32ELj32EllDF16_DF16_ffEEvb20rocsparse_direction_T2_S2_llNS_24const_host_device_scalarIT6_EEPKT1_PKS2_PKT3_S2_PKT4_llS5_PT5_ll16rocsparse_order_21rocsparse_index_base_b,comdat
.Lfunc_end14:
	.size	_ZN9rocsparseL29bsrmm_general_blockdim_kernelILj32ELj32EllDF16_DF16_ffEEvb20rocsparse_direction_T2_S2_llNS_24const_host_device_scalarIT6_EEPKT1_PKS2_PKT3_S2_PKT4_llS5_PT5_ll16rocsparse_order_21rocsparse_index_base_b, .Lfunc_end14-_ZN9rocsparseL29bsrmm_general_blockdim_kernelILj32ELj32EllDF16_DF16_ffEEvb20rocsparse_direction_T2_S2_llNS_24const_host_device_scalarIT6_EEPKT1_PKS2_PKT3_S2_PKT4_llS5_PT5_ll16rocsparse_order_21rocsparse_index_base_b
                                        ; -- End function
	.set _ZN9rocsparseL29bsrmm_general_blockdim_kernelILj32ELj32EllDF16_DF16_ffEEvb20rocsparse_direction_T2_S2_llNS_24const_host_device_scalarIT6_EEPKT1_PKS2_PKT3_S2_PKT4_llS5_PT5_ll16rocsparse_order_21rocsparse_index_base_b.num_vgpr, 55
	.set _ZN9rocsparseL29bsrmm_general_blockdim_kernelILj32ELj32EllDF16_DF16_ffEEvb20rocsparse_direction_T2_S2_llNS_24const_host_device_scalarIT6_EEPKT1_PKS2_PKT3_S2_PKT4_llS5_PT5_ll16rocsparse_order_21rocsparse_index_base_b.num_agpr, 0
	.set _ZN9rocsparseL29bsrmm_general_blockdim_kernelILj32ELj32EllDF16_DF16_ffEEvb20rocsparse_direction_T2_S2_llNS_24const_host_device_scalarIT6_EEPKT1_PKS2_PKT3_S2_PKT4_llS5_PT5_ll16rocsparse_order_21rocsparse_index_base_b.numbered_sgpr, 52
	.set _ZN9rocsparseL29bsrmm_general_blockdim_kernelILj32ELj32EllDF16_DF16_ffEEvb20rocsparse_direction_T2_S2_llNS_24const_host_device_scalarIT6_EEPKT1_PKS2_PKT3_S2_PKT4_llS5_PT5_ll16rocsparse_order_21rocsparse_index_base_b.num_named_barrier, 0
	.set _ZN9rocsparseL29bsrmm_general_blockdim_kernelILj32ELj32EllDF16_DF16_ffEEvb20rocsparse_direction_T2_S2_llNS_24const_host_device_scalarIT6_EEPKT1_PKS2_PKT3_S2_PKT4_llS5_PT5_ll16rocsparse_order_21rocsparse_index_base_b.private_seg_size, 0
	.set _ZN9rocsparseL29bsrmm_general_blockdim_kernelILj32ELj32EllDF16_DF16_ffEEvb20rocsparse_direction_T2_S2_llNS_24const_host_device_scalarIT6_EEPKT1_PKS2_PKT3_S2_PKT4_llS5_PT5_ll16rocsparse_order_21rocsparse_index_base_b.uses_vcc, 1
	.set _ZN9rocsparseL29bsrmm_general_blockdim_kernelILj32ELj32EllDF16_DF16_ffEEvb20rocsparse_direction_T2_S2_llNS_24const_host_device_scalarIT6_EEPKT1_PKS2_PKT3_S2_PKT4_llS5_PT5_ll16rocsparse_order_21rocsparse_index_base_b.uses_flat_scratch, 0
	.set _ZN9rocsparseL29bsrmm_general_blockdim_kernelILj32ELj32EllDF16_DF16_ffEEvb20rocsparse_direction_T2_S2_llNS_24const_host_device_scalarIT6_EEPKT1_PKS2_PKT3_S2_PKT4_llS5_PT5_ll16rocsparse_order_21rocsparse_index_base_b.has_dyn_sized_stack, 0
	.set _ZN9rocsparseL29bsrmm_general_blockdim_kernelILj32ELj32EllDF16_DF16_ffEEvb20rocsparse_direction_T2_S2_llNS_24const_host_device_scalarIT6_EEPKT1_PKS2_PKT3_S2_PKT4_llS5_PT5_ll16rocsparse_order_21rocsparse_index_base_b.has_recursion, 0
	.set _ZN9rocsparseL29bsrmm_general_blockdim_kernelILj32ELj32EllDF16_DF16_ffEEvb20rocsparse_direction_T2_S2_llNS_24const_host_device_scalarIT6_EEPKT1_PKS2_PKT3_S2_PKT4_llS5_PT5_ll16rocsparse_order_21rocsparse_index_base_b.has_indirect_call, 0
	.section	.AMDGPU.csdata,"",@progbits
; Kernel info:
; codeLenInByte = 2236
; TotalNumSgprs: 56
; NumVgprs: 55
; ScratchSize: 0
; MemoryBound: 0
; FloatMode: 240
; IeeeMode: 1
; LDSByteSize: 8192 bytes/workgroup (compile time only)
; SGPRBlocks: 8
; VGPRBlocks: 13
; NumSGPRsForWavesPerEU: 65
; NumVGPRsForWavesPerEU: 55
; Occupancy: 4
; WaveLimiterHint : 1
; COMPUTE_PGM_RSRC2:SCRATCH_EN: 0
; COMPUTE_PGM_RSRC2:USER_SGPR: 6
; COMPUTE_PGM_RSRC2:TRAP_HANDLER: 0
; COMPUTE_PGM_RSRC2:TGID_X_EN: 1
; COMPUTE_PGM_RSRC2:TGID_Y_EN: 1
; COMPUTE_PGM_RSRC2:TGID_Z_EN: 0
; COMPUTE_PGM_RSRC2:TIDIG_COMP_CNT: 1
	.section	.text._ZN9rocsparseL29bsrmm_general_blockdim_kernelILj32ELj32EiiaaiiEEvb20rocsparse_direction_T2_S2_llNS_24const_host_device_scalarIT6_EEPKT1_PKS2_PKT3_S2_PKT4_llS5_PT5_ll16rocsparse_order_21rocsparse_index_base_b,"axG",@progbits,_ZN9rocsparseL29bsrmm_general_blockdim_kernelILj32ELj32EiiaaiiEEvb20rocsparse_direction_T2_S2_llNS_24const_host_device_scalarIT6_EEPKT1_PKS2_PKT3_S2_PKT4_llS5_PT5_ll16rocsparse_order_21rocsparse_index_base_b,comdat
	.globl	_ZN9rocsparseL29bsrmm_general_blockdim_kernelILj32ELj32EiiaaiiEEvb20rocsparse_direction_T2_S2_llNS_24const_host_device_scalarIT6_EEPKT1_PKS2_PKT3_S2_PKT4_llS5_PT5_ll16rocsparse_order_21rocsparse_index_base_b ; -- Begin function _ZN9rocsparseL29bsrmm_general_blockdim_kernelILj32ELj32EiiaaiiEEvb20rocsparse_direction_T2_S2_llNS_24const_host_device_scalarIT6_EEPKT1_PKS2_PKT3_S2_PKT4_llS5_PT5_ll16rocsparse_order_21rocsparse_index_base_b
	.p2align	8
	.type	_ZN9rocsparseL29bsrmm_general_blockdim_kernelILj32ELj32EiiaaiiEEvb20rocsparse_direction_T2_S2_llNS_24const_host_device_scalarIT6_EEPKT1_PKS2_PKT3_S2_PKT4_llS5_PT5_ll16rocsparse_order_21rocsparse_index_base_b,@function
_ZN9rocsparseL29bsrmm_general_blockdim_kernelILj32ELj32EiiaaiiEEvb20rocsparse_direction_T2_S2_llNS_24const_host_device_scalarIT6_EEPKT1_PKS2_PKT3_S2_PKT4_llS5_PT5_ll16rocsparse_order_21rocsparse_index_base_b: ; @_ZN9rocsparseL29bsrmm_general_blockdim_kernelILj32ELj32EiiaaiiEEvb20rocsparse_direction_T2_S2_llNS_24const_host_device_scalarIT6_EEPKT1_PKS2_PKT3_S2_PKT4_llS5_PT5_ll16rocsparse_order_21rocsparse_index_base_b
; %bb.0:
	s_load_dwordx4 s[8:11], s[4:5], 0x80
	s_load_dwordx2 s[12:13], s[4:5], 0x20
	s_mov_b32 s0, s7
	s_mov_b64 s[14:15], -1
                                        ; implicit-def: $sgpr33
	s_waitcnt lgkmcnt(0)
	s_bitcmp1_b32 s10, 0
	s_cselect_b64 s[2:3], -1, 0
	s_xor_b64 s[10:11], s[2:3], -1
	s_and_b64 vcc, exec, s[10:11]
	s_cbranch_vccnz .LBB15_4
; %bb.1:
	s_load_dwordx2 s[2:3], s[4:5], 0x60
	s_andn2_b64 vcc, exec, s[14:15]
	s_cbranch_vccz .LBB15_5
.LBB15_2:
	s_and_b64 vcc, exec, s[10:11]
	s_cbranch_vccz .LBB15_6
.LBB15_3:
	s_waitcnt lgkmcnt(0)
	s_load_dword s38, s[2:3], 0x0
	s_cbranch_execz .LBB15_7
	s_branch .LBB15_8
.LBB15_4:
	s_load_dword s33, s[12:13], 0x0
	s_load_dwordx2 s[2:3], s[4:5], 0x60
	s_cbranch_execnz .LBB15_2
.LBB15_5:
	s_waitcnt lgkmcnt(0)
	s_mov_b32 s33, s12
	s_and_b64 vcc, exec, s[10:11]
	s_cbranch_vccnz .LBB15_3
.LBB15_6:
                                        ; implicit-def: $sgpr38
.LBB15_7:
	s_waitcnt lgkmcnt(0)
	s_mov_b32 s38, s2
.LBB15_8:
	s_waitcnt lgkmcnt(0)
	s_cmp_eq_u32 s33, 0
	s_cselect_b64 s[2:3], -1, 0
	s_cmp_eq_u32 s38, 1
	s_cselect_b64 s[10:11], -1, 0
	s_and_b64 s[2:3], s[2:3], s[10:11]
	s_mov_b32 s39, 0
	s_and_b64 vcc, exec, s[2:3]
	s_cbranch_vccnz .LBB15_59
; %bb.9:
	s_load_dwordx4 s[24:27], s[4:5], 0x0
	s_load_dwordx2 s[10:11], s[4:5], 0x28
	s_waitcnt lgkmcnt(0)
	s_cmp_lt_i32 s6, s26
	s_cselect_b64 s[2:3], -1, 0
	s_cmp_ge_i32 s6, s26
	s_cbranch_scc0 .LBB15_12
; %bb.10:
	s_andn2_b64 vcc, exec, s[2:3]
	s_mov_b32 s40, 0
	s_cbranch_vccz .LBB15_13
.LBB15_11:
	s_load_dword s41, s[4:5], 0x40
	s_waitcnt lgkmcnt(0)
	s_cmp_lt_i32 s41, 1
	s_cbranch_scc0 .LBB15_14
	s_branch .LBB15_59
.LBB15_12:
	s_ashr_i32 s7, s6, 31
	s_lshl_b64 s[12:13], s[6:7], 2
	s_add_u32 s12, s10, s12
	s_addc_u32 s13, s11, s13
	s_load_dword s1, s[12:13], 0x0
	s_waitcnt lgkmcnt(0)
	s_sub_i32 s39, s1, s9
	s_andn2_b64 vcc, exec, s[2:3]
	s_mov_b32 s40, 0
	s_cbranch_vccnz .LBB15_11
.LBB15_13:
	s_ashr_i32 s7, s6, 31
	s_lshl_b64 s[12:13], s[6:7], 2
	s_add_u32 s10, s10, s12
	s_addc_u32 s11, s11, s13
	s_load_dword s1, s[10:11], 0x4
	s_waitcnt lgkmcnt(0)
	s_sub_i32 s40, s1, s9
	s_load_dword s41, s[4:5], 0x40
	s_waitcnt lgkmcnt(0)
	s_cmp_lt_i32 s41, 1
	s_cbranch_scc1 .LBB15_59
.LBB15_14:
	s_load_dwordx4 s[12:15], s[4:5], 0x68
	s_load_dwordx4 s[16:19], s[4:5], 0x30
	s_load_dwordx4 s[20:23], s[4:5], 0x48
	v_lshl_add_u32 v6, s0, 5, v1
	s_bitcmp1_b32 s24, 0
	v_ashrrev_i32_e32 v7, 31, v6
	s_cselect_b64 s[4:5], -1, 0
	s_waitcnt lgkmcnt(0)
	v_mov_b32_e32 v2, s20
	v_mov_b32_e32 v3, s21
	s_mul_i32 s42, s41, s6
	v_mul_lo_u32 v8, s22, v7
	v_mul_lo_u32 v9, s23, v6
	v_mad_u64_u32 v[2:3], s[6:7], s22, v6, v[2:3]
	s_xor_b64 s[10:11], s[4:5], -1
	s_cmp_lt_i32 s39, s40
	s_cselect_b64 s[4:5], -1, 0
	v_cmp_gt_i32_e64 s[0:1], s27, v6
	v_mov_b32_e32 v5, s21
	v_add_co_u32_e32 v4, vcc, s20, v6
	s_cmp_lg_u32 s25, 0
	v_addc_co_u32_e32 v5, vcc, v5, v7, vcc
	v_add3_u32 v3, v9, v3, v8
	s_cselect_b64 s[6:7], -1, 0
	s_and_b64 s[20:21], s[2:3], s[0:1]
	v_lshlrev_b64 v[8:9], 2, v[6:7]
	v_mul_lo_u32 v14, s14, v7
	v_mul_lo_u32 v15, s15, v6
	v_mad_u64_u32 v[6:7], s[2:3], s14, v6, 0
	v_mov_b32_e32 v13, s13
	v_add_co_u32_e32 v12, vcc, s12, v8
	v_add3_u32 v7, v7, v14, v15
	v_lshlrev_b64 v[6:7], 2, v[6:7]
	v_addc_co_u32_e32 v13, vcc, v13, v9, vcc
	s_mul_i32 s2, s39, s41
	v_mov_b32_e32 v8, s13
	v_add_co_u32_e32 v14, vcc, s12, v6
	v_add_u32_e32 v6, s2, v0
	v_addc_co_u32_e32 v15, vcc, v8, v7, vcc
	v_mad_u64_u32 v[6:7], s[2:3], s41, v6, v[1:2]
	v_lshlrev_b32_e32 v10, 2, v0
	s_cmp_lg_u32 s38, 0
	v_or_b32_e32 v16, 0x1000, v10
	v_lshlrev_b32_e32 v11, 7, v1
	s_cselect_b64 s[24:25], -1, 0
	s_cmp_lg_u32 s8, 1
	v_cndmask_b32_e64 v7, 0, 1, s[4:5]
	s_mov_b32 s43, 0
	s_cselect_b64 s[26:27], -1, 0
	s_lshl_b32 s8, s41, 5
	s_mul_i32 s44, s41, s41
	v_cmp_ne_u32_e64 s[2:3], 1, v7
	v_add_u32_e32 v16, v16, v11
	s_branch .LBB15_16
.LBB15_15:                              ;   in Loop: Header=BB15_16 Depth=1
	s_or_b64 exec, exec, s[4:5]
	s_add_i32 s43, s43, 32
	s_cmp_lt_i32 s43, s41
	v_add_u32_e32 v6, s8, v6
	s_cbranch_scc0 .LBB15_59
.LBB15_16:                              ; =>This Loop Header: Depth=1
                                        ;     Child Loop BB15_19 Depth 2
                                        ;       Child Loop BB15_21 Depth 3
	v_add_u32_e32 v7, s43, v0
	v_mov_b32_e32 v18, 0
	s_and_b64 vcc, exec, s[2:3]
	v_cmp_gt_i32_e64 s[4:5], s41, v7
	s_cbranch_vccnz .LBB15_47
; %bb.17:                               ;   in Loop: Header=BB15_16 Depth=1
	v_mov_b32_e32 v18, 0
	v_mov_b32_e32 v17, v6
	s_mov_b32 s12, s39
	s_branch .LBB15_19
.LBB15_18:                              ;   in Loop: Header=BB15_19 Depth=2
	s_add_i32 s12, s12, 1
	s_cmp_ge_i32 s12, s40
	v_add_u32_e32 v17, s44, v17
	s_cbranch_scc1 .LBB15_47
.LBB15_19:                              ;   Parent Loop BB15_16 Depth=1
                                        ; =>  This Loop Header: Depth=2
                                        ;       Child Loop BB15_21 Depth 3
	s_ashr_i32 s13, s12, 31
	s_lshl_b64 s[28:29], s[12:13], 2
	s_add_u32 s28, s16, s28
	s_addc_u32 s29, s17, s29
	s_load_dword s28, s[28:29], 0x0
	s_mul_i32 s13, s12, s41
	s_mov_b32 s45, 0
	s_waitcnt lgkmcnt(0)
	s_sub_i32 s28, s28, s9
	s_mul_i32 s28, s28, s41
	v_add_u32_e32 v19, s28, v0
	s_branch .LBB15_21
.LBB15_20:                              ;   in Loop: Header=BB15_21 Depth=3
	s_or_b64 exec, exec, s[30:31]
	v_add_u32_e32 v8, v10, v11
	s_waitcnt vmcnt(0)
	ds_write_b32 v8, v9
	s_waitcnt lgkmcnt(0)
	s_barrier
	ds_read2_b32 v[8:9], v10 offset1:32
	ds_read_b128 v[20:23], v11 offset:4096
	ds_read2_b32 v[28:29], v10 offset0:64 offset1:96
	ds_read_b128 v[24:27], v11 offset:4112
	s_add_i32 s45, s45, 32
	s_cmp_ge_i32 s45, s41
	s_waitcnt lgkmcnt(2)
	v_mul_lo_u32 v34, v20, v8
	v_mul_lo_u32 v35, v21, v9
	s_waitcnt lgkmcnt(1)
	v_mul_lo_u32 v36, v22, v28
	v_mul_lo_u32 v37, v23, v29
	ds_read2_b32 v[8:9], v10 offset0:128 offset1:160
	ds_read_b128 v[20:23], v11 offset:4128
	ds_read_b128 v[28:31], v11 offset:4144
	ds_read2_b32 v[32:33], v10 offset0:192 offset1:224
	v_add3_u32 v18, v34, v18, v35
	s_waitcnt lgkmcnt(3)
	v_mul_lo_u32 v24, v24, v8
	v_mul_lo_u32 v25, v25, v9
	v_add3_u32 v18, v18, v36, v37
	s_waitcnt lgkmcnt(0)
	v_mul_lo_u32 v26, v26, v32
	v_mul_lo_u32 v27, v27, v33
	v_add_u32_e32 v32, 0x400, v10
	ds_read2_b32 v[8:9], v32 offset1:32
	v_add3_u32 v18, v18, v24, v25
	ds_read2_b32 v[24:25], v32 offset0:64 offset1:96
	v_add3_u32 v18, v18, v26, v27
	ds_read2_b32 v[26:27], v32 offset0:128 offset1:160
	s_waitcnt lgkmcnt(2)
	v_mul_lo_u32 v8, v20, v8
	v_mul_lo_u32 v9, v21, v9
	s_waitcnt lgkmcnt(1)
	v_mul_lo_u32 v20, v22, v24
	v_mul_lo_u32 v21, v23, v25
	;; [unrolled: 3-line block ×3, first 2 shown]
	v_add3_u32 v8, v18, v8, v9
	v_add3_u32 v18, v8, v20, v21
	ds_read2_b32 v[8:9], v32 offset0:192 offset1:224
	v_add_u32_e32 v34, 0x800, v10
	v_add3_u32 v18, v18, v22, v23
	ds_read2_b32 v[28:29], v34 offset1:32
	ds_read_b128 v[20:23], v11 offset:4160
	ds_read2_b32 v[32:33], v34 offset0:64 offset1:96
	s_waitcnt lgkmcnt(3)
	v_mul_lo_u32 v30, v30, v8
	v_mul_lo_u32 v31, v31, v9
	ds_read_b128 v[24:27], v11 offset:4176
	ds_read2_b32 v[8:9], v34 offset0:128 offset1:160
	s_waitcnt lgkmcnt(3)
	v_mul_lo_u32 v28, v20, v28
	v_mul_lo_u32 v29, v21, v29
	ds_read2_b32 v[20:21], v34 offset0:192 offset1:224
	s_waitcnt lgkmcnt(3)
	v_mul_lo_u32 v22, v22, v32
	v_mul_lo_u32 v23, v23, v33
	v_add3_u32 v18, v18, v30, v31
	v_add3_u32 v18, v18, v28, v29
	s_waitcnt lgkmcnt(1)
	v_mul_lo_u32 v24, v24, v8
	v_mul_lo_u32 v25, v25, v9
	v_add_u32_e32 v32, 0xc00, v10
	v_add3_u32 v18, v18, v22, v23
	s_waitcnt lgkmcnt(0)
	v_mul_lo_u32 v26, v26, v20
	v_mul_lo_u32 v27, v27, v21
	ds_read2_b32 v[8:9], v32 offset1:32
	ds_read_b128 v[20:23], v11 offset:4192
	v_add3_u32 v18, v18, v24, v25
	v_add3_u32 v18, v18, v26, v27
	ds_read2_b32 v[28:29], v32 offset0:64 offset1:96
	ds_read_b128 v[24:27], v11 offset:4208
	ds_read2_b32 v[30:31], v32 offset0:128 offset1:160
	s_waitcnt lgkmcnt(3)
	v_mul_lo_u32 v20, v20, v8
	v_mul_lo_u32 v21, v21, v9
	ds_read2_b32 v[8:9], v32 offset0:192 offset1:224
	s_waitcnt lgkmcnt(3)
	v_mul_lo_u32 v22, v22, v28
	v_mul_lo_u32 v23, v23, v29
	s_waitcnt lgkmcnt(1)
	v_mul_lo_u32 v24, v24, v30
	v_mul_lo_u32 v25, v25, v31
	;; [unrolled: 3-line block ×3, first 2 shown]
	v_add3_u32 v18, v18, v20, v21
	v_add3_u32 v18, v18, v22, v23
	;; [unrolled: 1-line block ×4, first 2 shown]
	s_barrier
	s_cbranch_scc1 .LBB15_18
.LBB15_21:                              ;   Parent Loop BB15_16 Depth=1
                                        ;     Parent Loop BB15_19 Depth=2
                                        ; =>    This Inner Loop Header: Depth=3
	s_mov_b64 s[28:29], -1
	s_and_b64 vcc, exec, s[10:11]
                                        ; implicit-def: $vgpr8
	s_cbranch_vccnz .LBB15_30
; %bb.22:                               ;   in Loop: Header=BB15_21 Depth=3
	s_andn2_b64 vcc, exec, s[28:29]
	s_cbranch_vccz .LBB15_35
.LBB15_23:                              ;   in Loop: Header=BB15_21 Depth=3
	s_and_b64 vcc, exec, s[6:7]
	s_waitcnt vmcnt(0)
	ds_write_b32 v16, v8
	s_cbranch_vccz .LBB15_40
.LBB15_24:                              ;   in Loop: Header=BB15_21 Depth=3
	s_mov_b64 s[30:31], 0
	s_mov_b64 s[28:29], 0
                                        ; implicit-def: $vgpr8
	s_and_saveexec_b64 s[34:35], s[4:5]
	s_cbranch_execz .LBB15_28
; %bb.25:                               ;   in Loop: Header=BB15_21 Depth=3
	v_add_u32_e32 v9, s45, v1
	v_cmp_gt_i32_e32 vcc, s41, v9
                                        ; implicit-def: $vgpr8
	s_and_saveexec_b64 s[36:37], vcc
	s_xor_b64 s[36:37], exec, s[36:37]
; %bb.26:                               ;   in Loop: Header=BB15_21 Depth=3
	v_add_u32_e32 v8, s13, v9
	s_mov_b64 s[28:29], exec
	v_mad_u64_u32 v[8:9], s[46:47], v8, s41, v[7:8]
; %bb.27:                               ;   in Loop: Header=BB15_21 Depth=3
	s_or_b64 exec, exec, s[36:37]
	s_and_b64 s[28:29], s[28:29], exec
.LBB15_28:                              ;   in Loop: Header=BB15_21 Depth=3
	s_or_b64 exec, exec, s[34:35]
	s_and_b64 vcc, exec, s[30:31]
	s_cbranch_vccnz .LBB15_41
.LBB15_29:                              ;   in Loop: Header=BB15_21 Depth=3
	v_mov_b32_e32 v9, 0
	s_and_saveexec_b64 s[30:31], s[28:29]
	s_cbranch_execz .LBB15_20
	s_branch .LBB15_46
.LBB15_30:                              ;   in Loop: Header=BB15_21 Depth=3
	v_mov_b32_e32 v8, 0
	s_and_saveexec_b64 s[28:29], s[0:1]
	s_cbranch_execz .LBB15_34
; %bb.31:                               ;   in Loop: Header=BB15_21 Depth=3
	v_add_u32_e32 v8, s45, v0
	v_cmp_gt_i32_e32 vcc, s41, v8
	v_mov_b32_e32 v8, 0
	s_and_saveexec_b64 s[30:31], vcc
	s_cbranch_execz .LBB15_33
; %bb.32:                               ;   in Loop: Header=BB15_21 Depth=3
	v_add_u32_e32 v8, s45, v19
	v_ashrrev_i32_e32 v9, 31, v8
	v_mul_lo_u32 v20, s22, v9
	v_mul_lo_u32 v21, s23, v8
	v_mad_u64_u32 v[8:9], s[34:35], s22, v8, v[4:5]
	v_add3_u32 v9, v21, v9, v20
	global_load_sbyte v8, v[8:9], off
.LBB15_33:                              ;   in Loop: Header=BB15_21 Depth=3
	s_or_b64 exec, exec, s[30:31]
.LBB15_34:                              ;   in Loop: Header=BB15_21 Depth=3
	s_or_b64 exec, exec, s[28:29]
	s_cbranch_execnz .LBB15_23
.LBB15_35:                              ;   in Loop: Header=BB15_21 Depth=3
	s_waitcnt vmcnt(0)
	v_mov_b32_e32 v8, 0
	s_and_saveexec_b64 s[28:29], s[0:1]
	s_cbranch_execz .LBB15_39
; %bb.36:                               ;   in Loop: Header=BB15_21 Depth=3
	v_add_u32_e32 v8, s45, v0
	v_cmp_gt_i32_e32 vcc, s41, v8
	v_mov_b32_e32 v8, 0
	s_and_saveexec_b64 s[30:31], vcc
	s_cbranch_execz .LBB15_38
; %bb.37:                               ;   in Loop: Header=BB15_21 Depth=3
	v_add_u32_e32 v8, s45, v19
	v_ashrrev_i32_e32 v9, 31, v8
	v_add_co_u32_e32 v8, vcc, v2, v8
	v_addc_co_u32_e32 v9, vcc, v3, v9, vcc
	global_load_sbyte v8, v[8:9], off
.LBB15_38:                              ;   in Loop: Header=BB15_21 Depth=3
	s_or_b64 exec, exec, s[30:31]
.LBB15_39:                              ;   in Loop: Header=BB15_21 Depth=3
	s_or_b64 exec, exec, s[28:29]
	s_and_b64 vcc, exec, s[6:7]
	s_waitcnt vmcnt(0)
	ds_write_b32 v16, v8
	s_cbranch_vccnz .LBB15_24
.LBB15_40:                              ;   in Loop: Header=BB15_21 Depth=3
	s_mov_b64 s[28:29], 0
                                        ; implicit-def: $vgpr8
	s_cbranch_execz .LBB15_29
.LBB15_41:                              ;   in Loop: Header=BB15_21 Depth=3
                                        ; implicit-def: $vgpr8
	s_and_saveexec_b64 s[30:31], s[4:5]
	s_cbranch_execz .LBB15_45
; %bb.42:                               ;   in Loop: Header=BB15_21 Depth=3
	v_add_u32_e32 v8, s45, v1
	v_cmp_gt_i32_e32 vcc, s41, v8
	s_mov_b64 s[34:35], s[28:29]
                                        ; implicit-def: $vgpr8
	s_and_saveexec_b64 s[36:37], vcc
; %bb.43:                               ;   in Loop: Header=BB15_21 Depth=3
	v_add_u32_e32 v8, s45, v17
	s_or_b64 s[34:35], s[28:29], exec
; %bb.44:                               ;   in Loop: Header=BB15_21 Depth=3
	s_or_b64 exec, exec, s[36:37]
	s_andn2_b64 s[28:29], s[28:29], exec
	s_and_b64 s[34:35], s[34:35], exec
	s_or_b64 s[28:29], s[28:29], s[34:35]
.LBB15_45:                              ;   in Loop: Header=BB15_21 Depth=3
	s_or_b64 exec, exec, s[30:31]
	v_mov_b32_e32 v9, 0
	s_and_saveexec_b64 s[30:31], s[28:29]
	s_cbranch_execz .LBB15_20
.LBB15_46:                              ;   in Loop: Header=BB15_21 Depth=3
	v_ashrrev_i32_e32 v9, 31, v8
	v_mov_b32_e32 v20, s19
	v_add_co_u32_e32 v8, vcc, s18, v8
	v_addc_co_u32_e32 v9, vcc, v20, v9, vcc
	global_load_sbyte v9, v[8:9], off
	s_branch .LBB15_20
.LBB15_47:                              ;   in Loop: Header=BB15_16 Depth=1
	v_cmp_gt_i32_e32 vcc, s41, v7
	s_and_b64 s[12:13], s[20:21], vcc
	s_and_saveexec_b64 s[4:5], s[12:13]
	s_cbranch_execz .LBB15_15
; %bb.48:                               ;   in Loop: Header=BB15_16 Depth=1
	v_add_u32_e32 v7, s42, v7
	s_and_b64 vcc, exec, s[24:25]
	v_ashrrev_i32_e32 v8, 31, v7
	s_mov_b64 s[12:13], -1
	s_cbranch_vccz .LBB15_54
; %bb.49:                               ;   in Loop: Header=BB15_16 Depth=1
	s_and_b64 vcc, exec, s[26:27]
	s_cbranch_vccz .LBB15_51
; %bb.50:                               ;   in Loop: Header=BB15_16 Depth=1
	v_mul_lo_u32 v9, s15, v7
	v_mul_lo_u32 v17, s14, v8
	v_mad_u64_u32 v[19:20], s[12:13], s14, v7, 0
	v_add3_u32 v20, v20, v17, v9
	v_lshlrev_b64 v[19:20], 2, v[19:20]
	v_mul_lo_u32 v9, v18, s33
	v_add_co_u32_e32 v19, vcc, v12, v19
	v_addc_co_u32_e32 v20, vcc, v13, v20, vcc
	global_load_dword v17, v[19:20], off
	s_waitcnt vmcnt(0)
	v_mad_u64_u32 v[21:22], s[12:13], v17, s38, v[9:10]
	s_mov_b64 s[12:13], 0
	global_store_dword v[19:20], v21, off
.LBB15_51:                              ;   in Loop: Header=BB15_16 Depth=1
	s_andn2_b64 vcc, exec, s[12:13]
	s_cbranch_vccnz .LBB15_53
; %bb.52:                               ;   in Loop: Header=BB15_16 Depth=1
	v_lshlrev_b64 v[19:20], 2, v[7:8]
	v_mul_lo_u32 v9, v18, s33
	v_add_co_u32_e32 v19, vcc, v14, v19
	v_addc_co_u32_e32 v20, vcc, v15, v20, vcc
	global_load_dword v17, v[19:20], off
	s_waitcnt vmcnt(0)
	v_mad_u64_u32 v[21:22], s[12:13], v17, s38, v[9:10]
	global_store_dword v[19:20], v21, off
.LBB15_53:                              ;   in Loop: Header=BB15_16 Depth=1
	s_mov_b64 s[12:13], 0
.LBB15_54:                              ;   in Loop: Header=BB15_16 Depth=1
	s_andn2_b64 vcc, exec, s[12:13]
	s_cbranch_vccnz .LBB15_15
; %bb.55:                               ;   in Loop: Header=BB15_16 Depth=1
	v_mul_lo_u32 v9, v18, s33
	s_mov_b64 s[12:13], -1
	s_and_b64 vcc, exec, s[26:27]
	s_cbranch_vccz .LBB15_57
; %bb.56:                               ;   in Loop: Header=BB15_16 Depth=1
	v_mul_lo_u32 v19, s15, v7
	v_mul_lo_u32 v20, s14, v8
	v_mad_u64_u32 v[17:18], s[12:13], s14, v7, 0
	s_mov_b64 s[12:13], 0
	v_add3_u32 v18, v18, v20, v19
	v_lshlrev_b64 v[17:18], 2, v[17:18]
	v_add_co_u32_e32 v17, vcc, v12, v17
	v_addc_co_u32_e32 v18, vcc, v13, v18, vcc
	global_store_dword v[17:18], v9, off
.LBB15_57:                              ;   in Loop: Header=BB15_16 Depth=1
	s_andn2_b64 vcc, exec, s[12:13]
	s_cbranch_vccnz .LBB15_15
; %bb.58:                               ;   in Loop: Header=BB15_16 Depth=1
	v_lshlrev_b64 v[7:8], 2, v[7:8]
	v_add_co_u32_e32 v7, vcc, v14, v7
	v_addc_co_u32_e32 v8, vcc, v15, v8, vcc
	global_store_dword v[7:8], v9, off
	s_branch .LBB15_15
.LBB15_59:
	s_endpgm
	.section	.rodata,"a",@progbits
	.p2align	6, 0x0
	.amdhsa_kernel _ZN9rocsparseL29bsrmm_general_blockdim_kernelILj32ELj32EiiaaiiEEvb20rocsparse_direction_T2_S2_llNS_24const_host_device_scalarIT6_EEPKT1_PKS2_PKT3_S2_PKT4_llS5_PT5_ll16rocsparse_order_21rocsparse_index_base_b
		.amdhsa_group_segment_fixed_size 8192
		.amdhsa_private_segment_fixed_size 0
		.amdhsa_kernarg_size 140
		.amdhsa_user_sgpr_count 6
		.amdhsa_user_sgpr_private_segment_buffer 1
		.amdhsa_user_sgpr_dispatch_ptr 0
		.amdhsa_user_sgpr_queue_ptr 0
		.amdhsa_user_sgpr_kernarg_segment_ptr 1
		.amdhsa_user_sgpr_dispatch_id 0
		.amdhsa_user_sgpr_flat_scratch_init 0
		.amdhsa_user_sgpr_private_segment_size 0
		.amdhsa_uses_dynamic_stack 0
		.amdhsa_system_sgpr_private_segment_wavefront_offset 0
		.amdhsa_system_sgpr_workgroup_id_x 1
		.amdhsa_system_sgpr_workgroup_id_y 1
		.amdhsa_system_sgpr_workgroup_id_z 0
		.amdhsa_system_sgpr_workgroup_info 0
		.amdhsa_system_vgpr_workitem_id 1
		.amdhsa_next_free_vgpr 38
		.amdhsa_next_free_sgpr 61
		.amdhsa_reserve_vcc 1
		.amdhsa_reserve_flat_scratch 0
		.amdhsa_float_round_mode_32 0
		.amdhsa_float_round_mode_16_64 0
		.amdhsa_float_denorm_mode_32 3
		.amdhsa_float_denorm_mode_16_64 3
		.amdhsa_dx10_clamp 1
		.amdhsa_ieee_mode 1
		.amdhsa_fp16_overflow 0
		.amdhsa_exception_fp_ieee_invalid_op 0
		.amdhsa_exception_fp_denorm_src 0
		.amdhsa_exception_fp_ieee_div_zero 0
		.amdhsa_exception_fp_ieee_overflow 0
		.amdhsa_exception_fp_ieee_underflow 0
		.amdhsa_exception_fp_ieee_inexact 0
		.amdhsa_exception_int_div_zero 0
	.end_amdhsa_kernel
	.section	.text._ZN9rocsparseL29bsrmm_general_blockdim_kernelILj32ELj32EiiaaiiEEvb20rocsparse_direction_T2_S2_llNS_24const_host_device_scalarIT6_EEPKT1_PKS2_PKT3_S2_PKT4_llS5_PT5_ll16rocsparse_order_21rocsparse_index_base_b,"axG",@progbits,_ZN9rocsparseL29bsrmm_general_blockdim_kernelILj32ELj32EiiaaiiEEvb20rocsparse_direction_T2_S2_llNS_24const_host_device_scalarIT6_EEPKT1_PKS2_PKT3_S2_PKT4_llS5_PT5_ll16rocsparse_order_21rocsparse_index_base_b,comdat
.Lfunc_end15:
	.size	_ZN9rocsparseL29bsrmm_general_blockdim_kernelILj32ELj32EiiaaiiEEvb20rocsparse_direction_T2_S2_llNS_24const_host_device_scalarIT6_EEPKT1_PKS2_PKT3_S2_PKT4_llS5_PT5_ll16rocsparse_order_21rocsparse_index_base_b, .Lfunc_end15-_ZN9rocsparseL29bsrmm_general_blockdim_kernelILj32ELj32EiiaaiiEEvb20rocsparse_direction_T2_S2_llNS_24const_host_device_scalarIT6_EEPKT1_PKS2_PKT3_S2_PKT4_llS5_PT5_ll16rocsparse_order_21rocsparse_index_base_b
                                        ; -- End function
	.set _ZN9rocsparseL29bsrmm_general_blockdim_kernelILj32ELj32EiiaaiiEEvb20rocsparse_direction_T2_S2_llNS_24const_host_device_scalarIT6_EEPKT1_PKS2_PKT3_S2_PKT4_llS5_PT5_ll16rocsparse_order_21rocsparse_index_base_b.num_vgpr, 38
	.set _ZN9rocsparseL29bsrmm_general_blockdim_kernelILj32ELj32EiiaaiiEEvb20rocsparse_direction_T2_S2_llNS_24const_host_device_scalarIT6_EEPKT1_PKS2_PKT3_S2_PKT4_llS5_PT5_ll16rocsparse_order_21rocsparse_index_base_b.num_agpr, 0
	.set _ZN9rocsparseL29bsrmm_general_blockdim_kernelILj32ELj32EiiaaiiEEvb20rocsparse_direction_T2_S2_llNS_24const_host_device_scalarIT6_EEPKT1_PKS2_PKT3_S2_PKT4_llS5_PT5_ll16rocsparse_order_21rocsparse_index_base_b.numbered_sgpr, 48
	.set _ZN9rocsparseL29bsrmm_general_blockdim_kernelILj32ELj32EiiaaiiEEvb20rocsparse_direction_T2_S2_llNS_24const_host_device_scalarIT6_EEPKT1_PKS2_PKT3_S2_PKT4_llS5_PT5_ll16rocsparse_order_21rocsparse_index_base_b.num_named_barrier, 0
	.set _ZN9rocsparseL29bsrmm_general_blockdim_kernelILj32ELj32EiiaaiiEEvb20rocsparse_direction_T2_S2_llNS_24const_host_device_scalarIT6_EEPKT1_PKS2_PKT3_S2_PKT4_llS5_PT5_ll16rocsparse_order_21rocsparse_index_base_b.private_seg_size, 0
	.set _ZN9rocsparseL29bsrmm_general_blockdim_kernelILj32ELj32EiiaaiiEEvb20rocsparse_direction_T2_S2_llNS_24const_host_device_scalarIT6_EEPKT1_PKS2_PKT3_S2_PKT4_llS5_PT5_ll16rocsparse_order_21rocsparse_index_base_b.uses_vcc, 1
	.set _ZN9rocsparseL29bsrmm_general_blockdim_kernelILj32ELj32EiiaaiiEEvb20rocsparse_direction_T2_S2_llNS_24const_host_device_scalarIT6_EEPKT1_PKS2_PKT3_S2_PKT4_llS5_PT5_ll16rocsparse_order_21rocsparse_index_base_b.uses_flat_scratch, 0
	.set _ZN9rocsparseL29bsrmm_general_blockdim_kernelILj32ELj32EiiaaiiEEvb20rocsparse_direction_T2_S2_llNS_24const_host_device_scalarIT6_EEPKT1_PKS2_PKT3_S2_PKT4_llS5_PT5_ll16rocsparse_order_21rocsparse_index_base_b.has_dyn_sized_stack, 0
	.set _ZN9rocsparseL29bsrmm_general_blockdim_kernelILj32ELj32EiiaaiiEEvb20rocsparse_direction_T2_S2_llNS_24const_host_device_scalarIT6_EEPKT1_PKS2_PKT3_S2_PKT4_llS5_PT5_ll16rocsparse_order_21rocsparse_index_base_b.has_recursion, 0
	.set _ZN9rocsparseL29bsrmm_general_blockdim_kernelILj32ELj32EiiaaiiEEvb20rocsparse_direction_T2_S2_llNS_24const_host_device_scalarIT6_EEPKT1_PKS2_PKT3_S2_PKT4_llS5_PT5_ll16rocsparse_order_21rocsparse_index_base_b.has_indirect_call, 0
	.section	.AMDGPU.csdata,"",@progbits
; Kernel info:
; codeLenInByte = 2196
; TotalNumSgprs: 52
; NumVgprs: 38
; ScratchSize: 0
; MemoryBound: 0
; FloatMode: 240
; IeeeMode: 1
; LDSByteSize: 8192 bytes/workgroup (compile time only)
; SGPRBlocks: 8
; VGPRBlocks: 9
; NumSGPRsForWavesPerEU: 65
; NumVGPRsForWavesPerEU: 38
; Occupancy: 6
; WaveLimiterHint : 1
; COMPUTE_PGM_RSRC2:SCRATCH_EN: 0
; COMPUTE_PGM_RSRC2:USER_SGPR: 6
; COMPUTE_PGM_RSRC2:TRAP_HANDLER: 0
; COMPUTE_PGM_RSRC2:TGID_X_EN: 1
; COMPUTE_PGM_RSRC2:TGID_Y_EN: 1
; COMPUTE_PGM_RSRC2:TGID_Z_EN: 0
; COMPUTE_PGM_RSRC2:TIDIG_COMP_CNT: 1
	.section	.text._ZN9rocsparseL29bsrmm_general_blockdim_kernelILj32ELj32EliaaiiEEvb20rocsparse_direction_T2_S2_llNS_24const_host_device_scalarIT6_EEPKT1_PKS2_PKT3_S2_PKT4_llS5_PT5_ll16rocsparse_order_21rocsparse_index_base_b,"axG",@progbits,_ZN9rocsparseL29bsrmm_general_blockdim_kernelILj32ELj32EliaaiiEEvb20rocsparse_direction_T2_S2_llNS_24const_host_device_scalarIT6_EEPKT1_PKS2_PKT3_S2_PKT4_llS5_PT5_ll16rocsparse_order_21rocsparse_index_base_b,comdat
	.globl	_ZN9rocsparseL29bsrmm_general_blockdim_kernelILj32ELj32EliaaiiEEvb20rocsparse_direction_T2_S2_llNS_24const_host_device_scalarIT6_EEPKT1_PKS2_PKT3_S2_PKT4_llS5_PT5_ll16rocsparse_order_21rocsparse_index_base_b ; -- Begin function _ZN9rocsparseL29bsrmm_general_blockdim_kernelILj32ELj32EliaaiiEEvb20rocsparse_direction_T2_S2_llNS_24const_host_device_scalarIT6_EEPKT1_PKS2_PKT3_S2_PKT4_llS5_PT5_ll16rocsparse_order_21rocsparse_index_base_b
	.p2align	8
	.type	_ZN9rocsparseL29bsrmm_general_blockdim_kernelILj32ELj32EliaaiiEEvb20rocsparse_direction_T2_S2_llNS_24const_host_device_scalarIT6_EEPKT1_PKS2_PKT3_S2_PKT4_llS5_PT5_ll16rocsparse_order_21rocsparse_index_base_b,@function
_ZN9rocsparseL29bsrmm_general_blockdim_kernelILj32ELj32EliaaiiEEvb20rocsparse_direction_T2_S2_llNS_24const_host_device_scalarIT6_EEPKT1_PKS2_PKT3_S2_PKT4_llS5_PT5_ll16rocsparse_order_21rocsparse_index_base_b: ; @_ZN9rocsparseL29bsrmm_general_blockdim_kernelILj32ELj32EliaaiiEEvb20rocsparse_direction_T2_S2_llNS_24const_host_device_scalarIT6_EEPKT1_PKS2_PKT3_S2_PKT4_llS5_PT5_ll16rocsparse_order_21rocsparse_index_base_b
; %bb.0:
	s_load_dwordx4 s[8:11], s[4:5], 0x80
	s_load_dwordx2 s[12:13], s[4:5], 0x20
	s_mov_b32 s0, s7
	s_mov_b64 s[14:15], -1
                                        ; implicit-def: $sgpr33
	s_waitcnt lgkmcnt(0)
	s_bitcmp1_b32 s10, 0
	s_cselect_b64 s[2:3], -1, 0
	s_xor_b64 s[10:11], s[2:3], -1
	s_and_b64 vcc, exec, s[10:11]
	s_cbranch_vccnz .LBB16_4
; %bb.1:
	s_load_dwordx2 s[2:3], s[4:5], 0x60
	s_andn2_b64 vcc, exec, s[14:15]
	s_cbranch_vccz .LBB16_5
.LBB16_2:
	s_and_b64 vcc, exec, s[10:11]
	s_cbranch_vccz .LBB16_6
.LBB16_3:
	s_waitcnt lgkmcnt(0)
	s_load_dword s42, s[2:3], 0x0
	s_cbranch_execz .LBB16_7
	s_branch .LBB16_8
.LBB16_4:
	s_load_dword s33, s[12:13], 0x0
	s_load_dwordx2 s[2:3], s[4:5], 0x60
	s_cbranch_execnz .LBB16_2
.LBB16_5:
	s_waitcnt lgkmcnt(0)
	s_mov_b32 s33, s12
	s_and_b64 vcc, exec, s[10:11]
	s_cbranch_vccnz .LBB16_3
.LBB16_6:
                                        ; implicit-def: $sgpr42
.LBB16_7:
	s_waitcnt lgkmcnt(0)
	s_mov_b32 s42, s2
.LBB16_8:
	s_waitcnt lgkmcnt(0)
	s_cmp_eq_u32 s33, 0
	s_cselect_b64 s[2:3], -1, 0
	s_cmp_eq_u32 s42, 1
	s_cselect_b64 s[10:11], -1, 0
	s_and_b64 s[2:3], s[2:3], s[10:11]
	s_and_b64 vcc, exec, s[2:3]
	s_cbranch_vccnz .LBB16_55
; %bb.9:
	s_load_dwordx4 s[24:27], s[4:5], 0x0
	s_load_dwordx2 s[12:13], s[4:5], 0x28
	s_mov_b64 s[10:11], 0
	s_mov_b64 s[28:29], 0
	s_waitcnt lgkmcnt(0)
	s_cmp_lt_i32 s6, s26
	s_cselect_b64 s[2:3], -1, 0
	s_cmp_ge_i32 s6, s26
	s_cbranch_scc0 .LBB16_12
; %bb.10:
	s_andn2_b64 vcc, exec, s[2:3]
	s_cbranch_vccz .LBB16_13
.LBB16_11:
	s_load_dword s43, s[4:5], 0x40
	s_waitcnt lgkmcnt(0)
	s_cmp_lt_i32 s43, 1
	s_cbranch_scc0 .LBB16_14
	s_branch .LBB16_55
.LBB16_12:
	s_ashr_i32 s7, s6, 31
	s_lshl_b64 s[14:15], s[6:7], 3
	s_add_u32 s14, s12, s14
	s_addc_u32 s15, s13, s15
	s_load_dwordx2 s[14:15], s[14:15], 0x0
	s_waitcnt lgkmcnt(0)
	s_sub_u32 s28, s14, s9
	s_subb_u32 s29, s15, 0
	s_andn2_b64 vcc, exec, s[2:3]
	s_cbranch_vccnz .LBB16_11
.LBB16_13:
	s_ashr_i32 s7, s6, 31
	s_lshl_b64 s[10:11], s[6:7], 3
	s_add_u32 s10, s12, s10
	s_addc_u32 s11, s13, s11
	s_load_dwordx2 s[10:11], s[10:11], 0x8
	s_waitcnt lgkmcnt(0)
	s_sub_u32 s10, s10, s9
	s_subb_u32 s11, s11, 0
	s_load_dword s43, s[4:5], 0x40
	s_waitcnt lgkmcnt(0)
	s_cmp_lt_i32 s43, 1
	s_cbranch_scc1 .LBB16_55
.LBB16_14:
	s_load_dwordx4 s[12:15], s[4:5], 0x68
	s_load_dwordx4 s[16:19], s[4:5], 0x30
	;; [unrolled: 1-line block ×3, first 2 shown]
	s_bitcmp1_b32 s24, 0
	v_lshl_add_u32 v6, s0, 5, v1
	s_cselect_b64 s[4:5], -1, 0
	v_ashrrev_i32_e32 v7, 31, v6
	s_waitcnt lgkmcnt(0)
	v_mov_b32_e32 v2, s20
	v_mov_b32_e32 v3, s21
	s_xor_b64 s[30:31], s[4:5], -1
	v_mul_lo_u32 v10, s22, v7
	v_mul_lo_u32 v11, s23, v6
	v_mad_u64_u32 v[2:3], s[4:5], s22, v6, v[2:3]
	v_cmp_gt_i32_e64 s[0:1], s27, v6
	v_mov_b32_e32 v5, s21
	v_add_co_u32_e32 v4, vcc, s20, v6
	s_cmp_lg_u32 s25, 0
	s_mul_i32 s44, s43, s6
	v_addc_co_u32_e32 v5, vcc, v5, v7, vcc
	v_add3_u32 v3, v11, v3, v10
	s_cselect_b64 s[6:7], -1, 0
	s_and_b64 s[20:21], s[2:3], s[0:1]
	v_lshlrev_b64 v[10:11], 2, v[6:7]
	v_mul_lo_u32 v13, s14, v7
	v_mul_lo_u32 v17, s15, v6
	v_mad_u64_u32 v[6:7], s[2:3], s14, v6, 0
	v_mov_b32_e32 v12, s13
	v_add_co_u32_e32 v10, vcc, s12, v10
	v_add3_u32 v7, v7, v13, v17
	v_lshlrev_b64 v[6:7], 2, v[6:7]
	v_addc_co_u32_e32 v11, vcc, v12, v11, vcc
	v_mov_b32_e32 v15, s11
	v_mov_b32_e32 v13, s13
	v_add_co_u32_e32 v12, vcc, s12, v6
	v_mov_b32_e32 v14, s10
	v_addc_co_u32_e32 v13, vcc, v13, v7, vcc
	v_cmp_lt_i64_e32 vcc, s[28:29], v[14:15]
	v_lshlrev_b32_e32 v8, 2, v0
	s_cmp_lg_u32 s42, 0
	v_or_b32_e32 v16, 0x1000, v8
	v_lshlrev_b32_e32 v9, 7, v1
	s_cselect_b64 s[24:25], -1, 0
	s_cmp_lg_u32 s8, 1
	v_cndmask_b32_e64 v6, 0, 1, vcc
	s_mov_b32 s45, 0
	s_mul_i32 s46, s43, s43
	s_cselect_b64 s[26:27], -1, 0
	v_cmp_ne_u32_e64 s[2:3], 1, v6
	v_add_u32_e32 v14, v16, v9
	v_add_u32_e32 v15, 0x400, v8
	;; [unrolled: 1-line block ×4, first 2 shown]
	s_branch .LBB16_16
.LBB16_15:                              ;   in Loop: Header=BB16_16 Depth=1
	s_or_b64 exec, exec, s[4:5]
	s_add_i32 s45, s45, 32
	s_cmp_lt_i32 s45, s43
	s_cbranch_scc0 .LBB16_55
.LBB16_16:                              ; =>This Loop Header: Depth=1
                                        ;     Child Loop BB16_19 Depth 2
                                        ;       Child Loop BB16_21 Depth 3
	v_add_u32_e32 v6, s45, v0
	v_mov_b32_e32 v18, 0
	s_and_b64 vcc, exec, s[2:3]
	v_cmp_gt_i32_e64 s[4:5], s43, v6
	s_cbranch_vccnz .LBB16_43
; %bb.17:                               ;   in Loop: Header=BB16_16 Depth=1
	v_mov_b32_e32 v18, 0
	s_mov_b64 s[12:13], s[28:29]
	s_branch .LBB16_19
.LBB16_18:                              ;   in Loop: Header=BB16_19 Depth=2
	s_add_u32 s12, s12, 1
	v_mov_b32_e32 v20, s11
	s_addc_u32 s13, s13, 0
	v_mov_b32_e32 v19, s10
	v_cmp_ge_i64_e32 vcc, s[12:13], v[19:20]
	s_cbranch_vccnz .LBB16_43
.LBB16_19:                              ;   Parent Loop BB16_16 Depth=1
                                        ; =>  This Loop Header: Depth=2
                                        ;       Child Loop BB16_21 Depth 3
	s_lshl_b64 s[34:35], s[12:13], 2
	s_add_u32 s34, s16, s34
	s_addc_u32 s35, s17, s35
	s_load_dword s8, s[34:35], 0x0
	s_mul_i32 s34, s13, s46
	s_mul_hi_u32 s35, s12, s46
	s_mul_i32 s36, s12, s46
	s_add_i32 s35, s35, s34
	s_waitcnt lgkmcnt(0)
	s_sub_i32 s8, s8, s9
	s_mul_i32 s34, s8, s43
	s_add_u32 s8, s18, s36
	s_addc_u32 s47, s19, s35
	v_add_u32_e32 v7, s34, v0
	s_mov_b32 s48, 0
	s_branch .LBB16_21
.LBB16_20:                              ;   in Loop: Header=BB16_21 Depth=3
	s_or_b64 exec, exec, s[36:37]
	v_add_u32_e32 v19, v8, v9
	s_waitcnt vmcnt(0)
	ds_write_b32 v19, v21
	s_waitcnt lgkmcnt(0)
	s_barrier
	ds_read2_b32 v[27:28], v8 offset1:32
	ds_read_b128 v[19:22], v9 offset:4096
	ds_read2_b32 v[29:30], v8 offset0:64 offset1:96
	ds_read_b128 v[23:26], v9 offset:4112
	s_add_i32 s48, s48, 32
	s_cmp_ge_i32 s48, s43
	s_waitcnt lgkmcnt(2)
	v_mul_lo_u32 v35, v19, v27
	v_mul_lo_u32 v36, v20, v28
	s_waitcnt lgkmcnt(1)
	v_mul_lo_u32 v37, v21, v29
	v_mul_lo_u32 v38, v22, v30
	ds_read2_b32 v[31:32], v8 offset0:128 offset1:160
	ds_read_b128 v[19:22], v9 offset:4128
	ds_read_b128 v[27:30], v9 offset:4144
	ds_read2_b32 v[33:34], v8 offset0:192 offset1:224
	v_add3_u32 v18, v35, v18, v36
	s_waitcnt lgkmcnt(3)
	v_mul_lo_u32 v31, v23, v31
	v_mul_lo_u32 v32, v24, v32
	ds_read2_b32 v[23:24], v15 offset1:32
	v_add3_u32 v18, v18, v37, v38
	s_waitcnt lgkmcnt(1)
	v_mul_lo_u32 v33, v25, v33
	v_mul_lo_u32 v34, v26, v34
	ds_read2_b32 v[25:26], v15 offset0:64 offset1:96
	v_add3_u32 v18, v18, v31, v32
	ds_read2_b32 v[31:32], v15 offset0:128 offset1:160
	s_waitcnt lgkmcnt(2)
	v_mul_lo_u32 v19, v19, v23
	v_mul_lo_u32 v20, v20, v24
	s_waitcnt lgkmcnt(1)
	v_mul_lo_u32 v21, v21, v25
	v_mul_lo_u32 v24, v22, v26
	;; [unrolled: 3-line block ×3, first 2 shown]
	ds_read2_b32 v[22:23], v15 offset0:192 offset1:224
	v_add3_u32 v18, v18, v33, v34
	v_add3_u32 v18, v18, v19, v20
	;; [unrolled: 1-line block ×4, first 2 shown]
	ds_read2_b32 v[26:27], v16 offset1:32
	ds_read_b128 v[18:21], v9 offset:4160
	s_waitcnt lgkmcnt(2)
	v_mul_lo_u32 v32, v29, v22
	ds_read2_b32 v[28:29], v16 offset0:64 offset1:96
	v_mul_lo_u32 v30, v30, v23
	ds_read_b128 v[22:25], v9 offset:4176
	s_waitcnt lgkmcnt(2)
	v_mul_lo_u32 v26, v18, v26
	v_mul_lo_u32 v27, v19, v27
	ds_read2_b32 v[18:19], v16 offset0:128 offset1:160
	s_waitcnt lgkmcnt(2)
	v_mul_lo_u32 v28, v20, v28
	v_mul_lo_u32 v29, v21, v29
	ds_read2_b32 v[20:21], v16 offset0:192 offset1:224
	v_add3_u32 v30, v31, v32, v30
	v_add3_u32 v26, v30, v26, v27
	s_waitcnt lgkmcnt(1)
	v_mul_lo_u32 v22, v22, v18
	v_mul_lo_u32 v23, v23, v19
	v_add3_u32 v28, v26, v28, v29
	s_waitcnt lgkmcnt(0)
	v_mul_lo_u32 v24, v24, v20
	v_mul_lo_u32 v25, v25, v21
	ds_read2_b32 v[26:27], v17 offset1:32
	ds_read_b128 v[18:21], v9 offset:4192
	v_add3_u32 v22, v28, v22, v23
	v_add3_u32 v32, v22, v24, v25
	ds_read2_b32 v[28:29], v17 offset0:64 offset1:96
	ds_read_b128 v[22:25], v9 offset:4208
	ds_read2_b32 v[30:31], v17 offset0:128 offset1:160
	s_waitcnt lgkmcnt(3)
	v_mul_lo_u32 v26, v18, v26
	v_mul_lo_u32 v27, v19, v27
	ds_read2_b32 v[18:19], v17 offset0:192 offset1:224
	s_waitcnt lgkmcnt(3)
	v_mul_lo_u32 v20, v20, v28
	v_mul_lo_u32 v21, v21, v29
	s_waitcnt lgkmcnt(1)
	v_mul_lo_u32 v22, v22, v30
	v_mul_lo_u32 v23, v23, v31
	;; [unrolled: 3-line block ×3, first 2 shown]
	v_add3_u32 v24, v32, v26, v27
	v_add3_u32 v20, v24, v20, v21
	;; [unrolled: 1-line block ×4, first 2 shown]
	s_barrier
	s_cbranch_scc1 .LBB16_18
.LBB16_21:                              ;   Parent Loop BB16_16 Depth=1
                                        ;     Parent Loop BB16_19 Depth=2
                                        ; =>    This Inner Loop Header: Depth=3
	s_mov_b64 s[34:35], -1
	s_and_b64 vcc, exec, s[30:31]
                                        ; implicit-def: $vgpr19
	s_cbranch_vccnz .LBB16_30
; %bb.22:                               ;   in Loop: Header=BB16_21 Depth=3
	s_andn2_b64 vcc, exec, s[34:35]
	s_cbranch_vccz .LBB16_35
.LBB16_23:                              ;   in Loop: Header=BB16_21 Depth=3
	s_and_b64 vcc, exec, s[6:7]
	s_waitcnt vmcnt(0)
	ds_write_b32 v14, v19
	s_cbranch_vccz .LBB16_40
.LBB16_24:                              ;   in Loop: Header=BB16_21 Depth=3
	s_mov_b64 s[36:37], 0
	s_mov_b64 s[34:35], 0
                                        ; implicit-def: $vgpr19
	s_and_saveexec_b64 s[38:39], s[4:5]
	s_cbranch_execz .LBB16_28
; %bb.25:                               ;   in Loop: Header=BB16_21 Depth=3
	v_add_u32_e32 v20, s48, v1
	v_cmp_gt_i32_e32 vcc, s43, v20
                                        ; implicit-def: $vgpr19
	s_and_saveexec_b64 s[40:41], vcc
	s_xor_b64 s[40:41], exec, s[40:41]
; %bb.26:                               ;   in Loop: Header=BB16_21 Depth=3
	s_mov_b64 s[34:35], exec
	v_mul_lo_u32 v19, v20, s43
; %bb.27:                               ;   in Loop: Header=BB16_21 Depth=3
	s_or_b64 exec, exec, s[40:41]
	s_and_b64 s[34:35], s[34:35], exec
.LBB16_28:                              ;   in Loop: Header=BB16_21 Depth=3
	s_or_b64 exec, exec, s[38:39]
	s_and_b64 vcc, exec, s[36:37]
	s_cbranch_vccz .LBB16_41
.LBB16_29:                              ;   in Loop: Header=BB16_21 Depth=3
	v_add_u32_e32 v19, s48, v1
	v_cmp_gt_i32_e32 vcc, s43, v19
	v_mul_lo_u32 v20, v6, s43
	s_and_b64 s[36:37], s[4:5], vcc
	s_andn2_b64 s[34:35], s[34:35], exec
	s_and_b64 s[36:37], s[36:37], exec
	s_or_b64 s[34:35], s[34:35], s[36:37]
	v_mov_b32_e32 v21, 0
	s_and_saveexec_b64 s[36:37], s[34:35]
	s_cbranch_execz .LBB16_20
	s_branch .LBB16_42
.LBB16_30:                              ;   in Loop: Header=BB16_21 Depth=3
	v_mov_b32_e32 v19, 0
	s_and_saveexec_b64 s[34:35], s[0:1]
	s_cbranch_execz .LBB16_34
; %bb.31:                               ;   in Loop: Header=BB16_21 Depth=3
	v_add_u32_e32 v19, s48, v0
	v_cmp_gt_i32_e32 vcc, s43, v19
	v_mov_b32_e32 v19, 0
	s_and_saveexec_b64 s[36:37], vcc
	s_cbranch_execz .LBB16_33
; %bb.32:                               ;   in Loop: Header=BB16_21 Depth=3
	v_add_u32_e32 v19, s48, v7
	v_ashrrev_i32_e32 v20, 31, v19
	v_mul_lo_u32 v21, s22, v20
	v_mul_lo_u32 v22, s23, v19
	v_mad_u64_u32 v[19:20], s[38:39], s22, v19, v[4:5]
	v_add3_u32 v20, v22, v20, v21
	global_load_sbyte v19, v[19:20], off
.LBB16_33:                              ;   in Loop: Header=BB16_21 Depth=3
	s_or_b64 exec, exec, s[36:37]
.LBB16_34:                              ;   in Loop: Header=BB16_21 Depth=3
	s_or_b64 exec, exec, s[34:35]
	s_cbranch_execnz .LBB16_23
.LBB16_35:                              ;   in Loop: Header=BB16_21 Depth=3
	s_waitcnt vmcnt(0)
	v_mov_b32_e32 v19, 0
	s_and_saveexec_b64 s[34:35], s[0:1]
	s_cbranch_execz .LBB16_39
; %bb.36:                               ;   in Loop: Header=BB16_21 Depth=3
	v_add_u32_e32 v19, s48, v0
	v_cmp_gt_i32_e32 vcc, s43, v19
	v_mov_b32_e32 v19, 0
	s_and_saveexec_b64 s[36:37], vcc
	s_cbranch_execz .LBB16_38
; %bb.37:                               ;   in Loop: Header=BB16_21 Depth=3
	v_add_u32_e32 v19, s48, v7
	v_ashrrev_i32_e32 v20, 31, v19
	v_add_co_u32_e32 v19, vcc, v2, v19
	v_addc_co_u32_e32 v20, vcc, v3, v20, vcc
	global_load_sbyte v19, v[19:20], off
.LBB16_38:                              ;   in Loop: Header=BB16_21 Depth=3
	s_or_b64 exec, exec, s[36:37]
.LBB16_39:                              ;   in Loop: Header=BB16_21 Depth=3
	s_or_b64 exec, exec, s[34:35]
	s_and_b64 vcc, exec, s[6:7]
	s_waitcnt vmcnt(0)
	ds_write_b32 v14, v19
	s_cbranch_vccnz .LBB16_24
.LBB16_40:                              ;   in Loop: Header=BB16_21 Depth=3
	s_mov_b64 s[34:35], 0
                                        ; implicit-def: $vgpr19
	s_cbranch_execnz .LBB16_29
.LBB16_41:                              ;   in Loop: Header=BB16_21 Depth=3
	v_mov_b32_e32 v20, v6
	v_mov_b32_e32 v21, 0
	s_and_saveexec_b64 s[36:37], s[34:35]
	s_cbranch_execz .LBB16_20
.LBB16_42:                              ;   in Loop: Header=BB16_21 Depth=3
	v_ashrrev_i32_e32 v21, 31, v20
	v_mov_b32_e32 v22, s47
	v_add_co_u32_e32 v20, vcc, s8, v20
	v_addc_co_u32_e32 v21, vcc, v22, v21, vcc
	v_ashrrev_i32_e32 v22, 31, v19
	v_add_co_u32_e32 v19, vcc, v20, v19
	v_addc_co_u32_e32 v20, vcc, v21, v22, vcc
	global_load_sbyte v21, v[19:20], off
	s_branch .LBB16_20
.LBB16_43:                              ;   in Loop: Header=BB16_16 Depth=1
	v_cmp_gt_i32_e32 vcc, s43, v6
	s_and_b64 s[12:13], s[20:21], vcc
	s_and_saveexec_b64 s[4:5], s[12:13]
	s_cbranch_execz .LBB16_15
; %bb.44:                               ;   in Loop: Header=BB16_16 Depth=1
	v_add_u32_e32 v6, s44, v6
	s_and_b64 vcc, exec, s[24:25]
	v_ashrrev_i32_e32 v7, 31, v6
	s_mov_b64 s[12:13], -1
	s_cbranch_vccz .LBB16_50
; %bb.45:                               ;   in Loop: Header=BB16_16 Depth=1
	s_and_b64 vcc, exec, s[26:27]
	s_cbranch_vccz .LBB16_47
; %bb.46:                               ;   in Loop: Header=BB16_16 Depth=1
	v_mul_lo_u32 v21, s15, v6
	v_mul_lo_u32 v22, s14, v7
	v_mad_u64_u32 v[19:20], s[12:13], s14, v6, 0
	v_add3_u32 v20, v20, v22, v21
	v_lshlrev_b64 v[19:20], 2, v[19:20]
	v_mul_lo_u32 v21, v18, s33
	v_add_co_u32_e32 v19, vcc, v10, v19
	v_addc_co_u32_e32 v20, vcc, v11, v20, vcc
	global_load_dword v22, v[19:20], off
	s_waitcnt vmcnt(0)
	v_mad_u64_u32 v[21:22], s[12:13], v22, s42, v[21:22]
	s_mov_b64 s[12:13], 0
	global_store_dword v[19:20], v21, off
.LBB16_47:                              ;   in Loop: Header=BB16_16 Depth=1
	s_andn2_b64 vcc, exec, s[12:13]
	s_cbranch_vccnz .LBB16_49
; %bb.48:                               ;   in Loop: Header=BB16_16 Depth=1
	v_lshlrev_b64 v[19:20], 2, v[6:7]
	v_mul_lo_u32 v21, v18, s33
	v_add_co_u32_e32 v19, vcc, v12, v19
	v_addc_co_u32_e32 v20, vcc, v13, v20, vcc
	global_load_dword v22, v[19:20], off
	s_waitcnt vmcnt(0)
	v_mad_u64_u32 v[21:22], s[12:13], v22, s42, v[21:22]
	global_store_dword v[19:20], v21, off
.LBB16_49:                              ;   in Loop: Header=BB16_16 Depth=1
	s_mov_b64 s[12:13], 0
.LBB16_50:                              ;   in Loop: Header=BB16_16 Depth=1
	s_andn2_b64 vcc, exec, s[12:13]
	s_cbranch_vccnz .LBB16_15
; %bb.51:                               ;   in Loop: Header=BB16_16 Depth=1
	v_mul_lo_u32 v18, v18, s33
	s_mov_b64 s[12:13], -1
	s_and_b64 vcc, exec, s[26:27]
	s_cbranch_vccz .LBB16_53
; %bb.52:                               ;   in Loop: Header=BB16_16 Depth=1
	v_mul_lo_u32 v21, s15, v6
	v_mul_lo_u32 v22, s14, v7
	v_mad_u64_u32 v[19:20], s[12:13], s14, v6, 0
	s_mov_b64 s[12:13], 0
	v_add3_u32 v20, v20, v22, v21
	v_lshlrev_b64 v[19:20], 2, v[19:20]
	v_add_co_u32_e32 v19, vcc, v10, v19
	v_addc_co_u32_e32 v20, vcc, v11, v20, vcc
	global_store_dword v[19:20], v18, off
.LBB16_53:                              ;   in Loop: Header=BB16_16 Depth=1
	s_andn2_b64 vcc, exec, s[12:13]
	s_cbranch_vccnz .LBB16_15
; %bb.54:                               ;   in Loop: Header=BB16_16 Depth=1
	v_lshlrev_b64 v[6:7], 2, v[6:7]
	v_add_co_u32_e32 v6, vcc, v12, v6
	v_addc_co_u32_e32 v7, vcc, v13, v7, vcc
	global_store_dword v[6:7], v18, off
	s_branch .LBB16_15
.LBB16_55:
	s_endpgm
	.section	.rodata,"a",@progbits
	.p2align	6, 0x0
	.amdhsa_kernel _ZN9rocsparseL29bsrmm_general_blockdim_kernelILj32ELj32EliaaiiEEvb20rocsparse_direction_T2_S2_llNS_24const_host_device_scalarIT6_EEPKT1_PKS2_PKT3_S2_PKT4_llS5_PT5_ll16rocsparse_order_21rocsparse_index_base_b
		.amdhsa_group_segment_fixed_size 8192
		.amdhsa_private_segment_fixed_size 0
		.amdhsa_kernarg_size 140
		.amdhsa_user_sgpr_count 6
		.amdhsa_user_sgpr_private_segment_buffer 1
		.amdhsa_user_sgpr_dispatch_ptr 0
		.amdhsa_user_sgpr_queue_ptr 0
		.amdhsa_user_sgpr_kernarg_segment_ptr 1
		.amdhsa_user_sgpr_dispatch_id 0
		.amdhsa_user_sgpr_flat_scratch_init 0
		.amdhsa_user_sgpr_private_segment_size 0
		.amdhsa_uses_dynamic_stack 0
		.amdhsa_system_sgpr_private_segment_wavefront_offset 0
		.amdhsa_system_sgpr_workgroup_id_x 1
		.amdhsa_system_sgpr_workgroup_id_y 1
		.amdhsa_system_sgpr_workgroup_id_z 0
		.amdhsa_system_sgpr_workgroup_info 0
		.amdhsa_system_vgpr_workitem_id 1
		.amdhsa_next_free_vgpr 39
		.amdhsa_next_free_sgpr 61
		.amdhsa_reserve_vcc 1
		.amdhsa_reserve_flat_scratch 0
		.amdhsa_float_round_mode_32 0
		.amdhsa_float_round_mode_16_64 0
		.amdhsa_float_denorm_mode_32 3
		.amdhsa_float_denorm_mode_16_64 3
		.amdhsa_dx10_clamp 1
		.amdhsa_ieee_mode 1
		.amdhsa_fp16_overflow 0
		.amdhsa_exception_fp_ieee_invalid_op 0
		.amdhsa_exception_fp_denorm_src 0
		.amdhsa_exception_fp_ieee_div_zero 0
		.amdhsa_exception_fp_ieee_overflow 0
		.amdhsa_exception_fp_ieee_underflow 0
		.amdhsa_exception_fp_ieee_inexact 0
		.amdhsa_exception_int_div_zero 0
	.end_amdhsa_kernel
	.section	.text._ZN9rocsparseL29bsrmm_general_blockdim_kernelILj32ELj32EliaaiiEEvb20rocsparse_direction_T2_S2_llNS_24const_host_device_scalarIT6_EEPKT1_PKS2_PKT3_S2_PKT4_llS5_PT5_ll16rocsparse_order_21rocsparse_index_base_b,"axG",@progbits,_ZN9rocsparseL29bsrmm_general_blockdim_kernelILj32ELj32EliaaiiEEvb20rocsparse_direction_T2_S2_llNS_24const_host_device_scalarIT6_EEPKT1_PKS2_PKT3_S2_PKT4_llS5_PT5_ll16rocsparse_order_21rocsparse_index_base_b,comdat
.Lfunc_end16:
	.size	_ZN9rocsparseL29bsrmm_general_blockdim_kernelILj32ELj32EliaaiiEEvb20rocsparse_direction_T2_S2_llNS_24const_host_device_scalarIT6_EEPKT1_PKS2_PKT3_S2_PKT4_llS5_PT5_ll16rocsparse_order_21rocsparse_index_base_b, .Lfunc_end16-_ZN9rocsparseL29bsrmm_general_blockdim_kernelILj32ELj32EliaaiiEEvb20rocsparse_direction_T2_S2_llNS_24const_host_device_scalarIT6_EEPKT1_PKS2_PKT3_S2_PKT4_llS5_PT5_ll16rocsparse_order_21rocsparse_index_base_b
                                        ; -- End function
	.set _ZN9rocsparseL29bsrmm_general_blockdim_kernelILj32ELj32EliaaiiEEvb20rocsparse_direction_T2_S2_llNS_24const_host_device_scalarIT6_EEPKT1_PKS2_PKT3_S2_PKT4_llS5_PT5_ll16rocsparse_order_21rocsparse_index_base_b.num_vgpr, 39
	.set _ZN9rocsparseL29bsrmm_general_blockdim_kernelILj32ELj32EliaaiiEEvb20rocsparse_direction_T2_S2_llNS_24const_host_device_scalarIT6_EEPKT1_PKS2_PKT3_S2_PKT4_llS5_PT5_ll16rocsparse_order_21rocsparse_index_base_b.num_agpr, 0
	.set _ZN9rocsparseL29bsrmm_general_blockdim_kernelILj32ELj32EliaaiiEEvb20rocsparse_direction_T2_S2_llNS_24const_host_device_scalarIT6_EEPKT1_PKS2_PKT3_S2_PKT4_llS5_PT5_ll16rocsparse_order_21rocsparse_index_base_b.numbered_sgpr, 49
	.set _ZN9rocsparseL29bsrmm_general_blockdim_kernelILj32ELj32EliaaiiEEvb20rocsparse_direction_T2_S2_llNS_24const_host_device_scalarIT6_EEPKT1_PKS2_PKT3_S2_PKT4_llS5_PT5_ll16rocsparse_order_21rocsparse_index_base_b.num_named_barrier, 0
	.set _ZN9rocsparseL29bsrmm_general_blockdim_kernelILj32ELj32EliaaiiEEvb20rocsparse_direction_T2_S2_llNS_24const_host_device_scalarIT6_EEPKT1_PKS2_PKT3_S2_PKT4_llS5_PT5_ll16rocsparse_order_21rocsparse_index_base_b.private_seg_size, 0
	.set _ZN9rocsparseL29bsrmm_general_blockdim_kernelILj32ELj32EliaaiiEEvb20rocsparse_direction_T2_S2_llNS_24const_host_device_scalarIT6_EEPKT1_PKS2_PKT3_S2_PKT4_llS5_PT5_ll16rocsparse_order_21rocsparse_index_base_b.uses_vcc, 1
	.set _ZN9rocsparseL29bsrmm_general_blockdim_kernelILj32ELj32EliaaiiEEvb20rocsparse_direction_T2_S2_llNS_24const_host_device_scalarIT6_EEPKT1_PKS2_PKT3_S2_PKT4_llS5_PT5_ll16rocsparse_order_21rocsparse_index_base_b.uses_flat_scratch, 0
	.set _ZN9rocsparseL29bsrmm_general_blockdim_kernelILj32ELj32EliaaiiEEvb20rocsparse_direction_T2_S2_llNS_24const_host_device_scalarIT6_EEPKT1_PKS2_PKT3_S2_PKT4_llS5_PT5_ll16rocsparse_order_21rocsparse_index_base_b.has_dyn_sized_stack, 0
	.set _ZN9rocsparseL29bsrmm_general_blockdim_kernelILj32ELj32EliaaiiEEvb20rocsparse_direction_T2_S2_llNS_24const_host_device_scalarIT6_EEPKT1_PKS2_PKT3_S2_PKT4_llS5_PT5_ll16rocsparse_order_21rocsparse_index_base_b.has_recursion, 0
	.set _ZN9rocsparseL29bsrmm_general_blockdim_kernelILj32ELj32EliaaiiEEvb20rocsparse_direction_T2_S2_llNS_24const_host_device_scalarIT6_EEPKT1_PKS2_PKT3_S2_PKT4_llS5_PT5_ll16rocsparse_order_21rocsparse_index_base_b.has_indirect_call, 0
	.section	.AMDGPU.csdata,"",@progbits
; Kernel info:
; codeLenInByte = 2192
; TotalNumSgprs: 53
; NumVgprs: 39
; ScratchSize: 0
; MemoryBound: 0
; FloatMode: 240
; IeeeMode: 1
; LDSByteSize: 8192 bytes/workgroup (compile time only)
; SGPRBlocks: 8
; VGPRBlocks: 9
; NumSGPRsForWavesPerEU: 65
; NumVGPRsForWavesPerEU: 39
; Occupancy: 6
; WaveLimiterHint : 1
; COMPUTE_PGM_RSRC2:SCRATCH_EN: 0
; COMPUTE_PGM_RSRC2:USER_SGPR: 6
; COMPUTE_PGM_RSRC2:TRAP_HANDLER: 0
; COMPUTE_PGM_RSRC2:TGID_X_EN: 1
; COMPUTE_PGM_RSRC2:TGID_Y_EN: 1
; COMPUTE_PGM_RSRC2:TGID_Z_EN: 0
; COMPUTE_PGM_RSRC2:TIDIG_COMP_CNT: 1
	.section	.text._ZN9rocsparseL29bsrmm_general_blockdim_kernelILj32ELj32EllaaiiEEvb20rocsparse_direction_T2_S2_llNS_24const_host_device_scalarIT6_EEPKT1_PKS2_PKT3_S2_PKT4_llS5_PT5_ll16rocsparse_order_21rocsparse_index_base_b,"axG",@progbits,_ZN9rocsparseL29bsrmm_general_blockdim_kernelILj32ELj32EllaaiiEEvb20rocsparse_direction_T2_S2_llNS_24const_host_device_scalarIT6_EEPKT1_PKS2_PKT3_S2_PKT4_llS5_PT5_ll16rocsparse_order_21rocsparse_index_base_b,comdat
	.globl	_ZN9rocsparseL29bsrmm_general_blockdim_kernelILj32ELj32EllaaiiEEvb20rocsparse_direction_T2_S2_llNS_24const_host_device_scalarIT6_EEPKT1_PKS2_PKT3_S2_PKT4_llS5_PT5_ll16rocsparse_order_21rocsparse_index_base_b ; -- Begin function _ZN9rocsparseL29bsrmm_general_blockdim_kernelILj32ELj32EllaaiiEEvb20rocsparse_direction_T2_S2_llNS_24const_host_device_scalarIT6_EEPKT1_PKS2_PKT3_S2_PKT4_llS5_PT5_ll16rocsparse_order_21rocsparse_index_base_b
	.p2align	8
	.type	_ZN9rocsparseL29bsrmm_general_blockdim_kernelILj32ELj32EllaaiiEEvb20rocsparse_direction_T2_S2_llNS_24const_host_device_scalarIT6_EEPKT1_PKS2_PKT3_S2_PKT4_llS5_PT5_ll16rocsparse_order_21rocsparse_index_base_b,@function
_ZN9rocsparseL29bsrmm_general_blockdim_kernelILj32ELj32EllaaiiEEvb20rocsparse_direction_T2_S2_llNS_24const_host_device_scalarIT6_EEPKT1_PKS2_PKT3_S2_PKT4_llS5_PT5_ll16rocsparse_order_21rocsparse_index_base_b: ; @_ZN9rocsparseL29bsrmm_general_blockdim_kernelILj32ELj32EllaaiiEEvb20rocsparse_direction_T2_S2_llNS_24const_host_device_scalarIT6_EEPKT1_PKS2_PKT3_S2_PKT4_llS5_PT5_ll16rocsparse_order_21rocsparse_index_base_b
; %bb.0:
	s_load_dwordx4 s[20:23], s[4:5], 0x88
	s_load_dwordx2 s[10:11], s[4:5], 0x28
	s_mov_b32 s0, s7
	v_mov_b32_e32 v3, v0
	s_mov_b64 s[12:13], -1
	s_waitcnt lgkmcnt(0)
	s_bitcmp1_b32 s22, 0
	s_cselect_b64 s[2:3], -1, 0
	s_xor_b64 s[8:9], s[2:3], -1
	s_and_b64 vcc, exec, s[8:9]
                                        ; implicit-def: $sgpr33
	s_cbranch_vccnz .LBB17_4
; %bb.1:
	s_load_dwordx2 s[2:3], s[4:5], 0x68
	s_andn2_b64 vcc, exec, s[12:13]
	s_cbranch_vccz .LBB17_5
.LBB17_2:
	s_and_b64 vcc, exec, s[8:9]
	s_cbranch_vccz .LBB17_6
.LBB17_3:
	s_waitcnt lgkmcnt(0)
	s_load_dword s44, s[2:3], 0x0
	s_cbranch_execz .LBB17_7
	s_branch .LBB17_8
.LBB17_4:
	s_load_dword s33, s[10:11], 0x0
	s_load_dwordx2 s[2:3], s[4:5], 0x68
	s_cbranch_execnz .LBB17_2
.LBB17_5:
	s_waitcnt lgkmcnt(0)
	s_mov_b32 s33, s10
	s_and_b64 vcc, exec, s[8:9]
	s_cbranch_vccnz .LBB17_3
.LBB17_6:
                                        ; implicit-def: $sgpr44
.LBB17_7:
	s_waitcnt lgkmcnt(0)
	s_mov_b32 s44, s2
.LBB17_8:
	s_waitcnt lgkmcnt(0)
	s_cmp_eq_u32 s33, 0
	s_cselect_b64 s[2:3], -1, 0
	s_cmp_eq_u32 s44, 1
	s_cselect_b64 s[8:9], -1, 0
	s_and_b64 s[2:3], s[2:3], s[8:9]
	s_and_b64 vcc, exec, s[2:3]
	s_cbranch_vccnz .LBB17_57
; %bb.9:
	s_load_dwordx4 s[24:27], s[4:5], 0x8
	s_load_dwordx2 s[8:9], s[4:5], 0x30
	s_ashr_i32 s7, s6, 31
	v_mov_b32_e32 v4, s6
	v_mov_b32_e32 v5, s7
	s_waitcnt lgkmcnt(0)
	v_cmp_le_i64_e32 vcc, s[24:25], v[4:5]
	v_cmp_gt_i64_e64 s[2:3], s[24:25], v[4:5]
	s_mov_b64 s[22:23], 0
	s_mov_b64 s[24:25], 0
	s_cbranch_vccz .LBB17_12
; %bb.10:
	s_andn2_b64 vcc, exec, s[2:3]
	s_cbranch_vccz .LBB17_13
.LBB17_11:
	s_load_dwordx2 s[28:29], s[4:5], 0x48
	s_waitcnt lgkmcnt(0)
	v_cmp_lt_i64_e64 s[8:9], s[28:29], 1
	s_and_b64 vcc, exec, s[8:9]
	s_cbranch_vccz .LBB17_14
	s_branch .LBB17_57
.LBB17_12:
	s_lshl_b64 s[10:11], s[6:7], 3
	s_add_u32 s10, s8, s10
	s_addc_u32 s11, s9, s11
	s_load_dwordx2 s[10:11], s[10:11], 0x0
	s_waitcnt lgkmcnt(0)
	s_sub_u32 s24, s10, s21
	s_subb_u32 s25, s11, 0
	s_andn2_b64 vcc, exec, s[2:3]
	s_cbranch_vccnz .LBB17_11
.LBB17_13:
	s_lshl_b64 s[10:11], s[6:7], 3
	s_add_u32 s8, s8, s10
	s_addc_u32 s9, s9, s11
	s_load_dwordx2 s[8:9], s[8:9], 0x8
	s_waitcnt lgkmcnt(0)
	s_sub_u32 s22, s8, s21
	s_subb_u32 s23, s9, 0
	s_load_dwordx2 s[28:29], s[4:5], 0x48
	s_waitcnt lgkmcnt(0)
	v_cmp_lt_i64_e64 s[8:9], s[28:29], 1
	s_and_b64 vcc, exec, s[8:9]
	s_cbranch_vccnz .LBB17_57
.LBB17_14:
	s_load_dwordx4 s[8:11], s[4:5], 0x70
	s_load_dwordx4 s[12:15], s[4:5], 0x50
	;; [unrolled: 1-line block ×3, first 2 shown]
	s_load_dwordx2 s[34:35], s[4:5], 0x0
	v_lshl_add_u32 v7, s0, 5, v1
	v_mov_b32_e32 v8, 0
	v_lshlrev_b64 v[4:5], 2, v[7:8]
	s_waitcnt lgkmcnt(0)
	v_mov_b32_e32 v2, s9
	v_add_co_u32_e32 v0, vcc, s8, v4
	s_bitcmp1_b32 s34, 0
	v_addc_co_u32_e32 v27, vcc, v2, v5, vcc
	s_cselect_b64 s[0:1], -1, 0
	v_mov_b32_e32 v5, s12
	s_xor_b64 s[30:31], s[0:1], -1
	s_mul_i32 s0, s29, s6
	s_mul_hi_u32 s1, s28, s6
	v_mov_b32_e32 v6, s13
	s_add_i32 s45, s1, s0
	v_mad_u64_u32 v[5:6], s[0:1], s14, v7, v[5:6]
	v_mov_b32_e32 v4, v8
	s_cmp_lg_u32 s35, 0
	v_mov_b32_e32 v2, v6
	v_mad_u64_u32 v[9:10], s[0:1], s15, v7, v[2:3]
	v_cmp_gt_i64_e64 s[0:1], s[26:27], v[7:8]
	v_mov_b32_e32 v2, v8
	v_mov_b32_e32 v6, v9
	v_mad_u64_u32 v[9:10], s[4:5], s10, v7, 0
	s_cselect_b64 s[26:27], -1, 0
	s_and_b64 s[34:35], s[2:3], s[0:1]
	v_mov_b32_e32 v8, v10
	v_mad_u64_u32 v[10:11], s[2:3], s11, v7, v[8:9]
	v_mov_b32_e32 v32, s28
	s_cmp_lg_u32 s44, 0
	v_lshlrev_b64 v[8:9], 2, v[9:10]
	v_mov_b32_e32 v10, s9
	v_add_co_u32_e32 v30, vcc, s8, v8
	v_addc_co_u32_e32 v31, vcc, v10, v9, vcc
	v_mad_u64_u32 v[8:9], s[2:3], s24, v32, v[3:4]
	s_cselect_b64 s[36:37], -1, 0
	s_cmp_lg_u32 s20, 1
	s_mul_i32 s2, s25, s28
	s_mul_i32 s3, s24, s29
	s_mov_b32 s47, s21
	s_cselect_b64 s[20:21], -1, 0
	s_add_i32 s4, s3, s2
	v_add_u32_e32 v9, s4, v9
	v_mul_lo_u32 v12, s28, v9
	v_mad_u64_u32 v[9:10], s[2:3], s28, v8, v[1:2]
	v_mul_lo_u32 v15, s29, v8
	v_mov_b32_e32 v11, s13
	v_add_co_u32_e32 v7, vcc, s12, v7
	v_addc_co_u32_e32 v8, vcc, 0, v11, vcc
	v_add3_u32 v10, v15, v10, v12
	v_mov_b32_e32 v11, s19
	v_add_co_u32_e32 v9, vcc, s18, v9
	v_addc_co_u32_e32 v10, vcc, v11, v10, vcc
	v_mad_u64_u32 v[11:12], s[2:3], s24, v32, v[1:2]
	v_mov_b32_e32 v13, s22
	v_mov_b32_e32 v14, s23
	v_add_u32_e32 v2, s4, v12
	v_mul_lo_u32 v2, s28, v2
	v_mad_u64_u32 v[15:16], s[2:3], s28, v11, v[3:4]
	v_mul_lo_u32 v11, s29, v11
	v_mov_b32_e32 v12, s19
	s_mul_i32 s46, s28, s6
	v_lshlrev_b32_e32 v28, 2, v3
	v_add3_u32 v2, v11, v16, v2
	v_add_co_u32_e32 v11, vcc, s18, v15
	v_addc_co_u32_e32 v12, vcc, v12, v2, vcc
	v_cmp_lt_i64_e32 vcc, s[24:25], v[13:14]
	s_mul_i32 s5, s28, s29
	s_mul_hi_u32 s6, s28, s28
	v_or_b32_e32 v17, 0x1000, v28
	v_lshlrev_b32_e32 v29, 7, v1
	s_add_i32 s2, s6, s5
	v_cndmask_b32_e64 v13, 0, 1, vcc
	s_lshl_b64 s[8:9], s[14:15], 5
	s_lshl_b64 s[12:13], s[28:29], 5
	s_add_i32 s48, s2, s5
	s_mul_i32 s49, s28, s28
	s_mov_b64 s[18:19], 0
	v_add_u32_e32 v2, v17, v29
	v_cmp_ne_u32_e64 s[2:3], 1, v13
	s_branch .LBB17_16
.LBB17_15:                              ;   in Loop: Header=BB17_16 Depth=1
	s_or_b64 exec, exec, s[4:5]
	v_mov_b32_e32 v13, s13
	v_add_co_u32_e32 v9, vcc, s12, v9
	s_add_u32 s18, s18, 32
	v_addc_co_u32_e32 v10, vcc, v10, v13, vcc
	v_mov_b32_e32 v13, s28
	s_addc_u32 s19, s19, 0
	v_mov_b32_e32 v14, s29
	v_cmp_lt_i64_e32 vcc, s[18:19], v[13:14]
	v_add_co_u32_e64 v11, s[4:5], 32, v11
	v_addc_co_u32_e64 v12, s[4:5], 0, v12, s[4:5]
	s_cbranch_vccz .LBB17_57
.LBB17_16:                              ; =>This Loop Header: Depth=1
                                        ;     Child Loop BB17_19 Depth 2
                                        ;       Child Loop BB17_23 Depth 3
	v_mov_b32_e32 v14, s19
	v_add_co_u32_e32 v13, vcc, s18, v3
	v_addc_co_u32_e32 v14, vcc, 0, v14, vcc
	v_cmp_gt_i64_e64 s[4:5], s[28:29], v[13:14]
	s_and_b64 vcc, exec, s[2:3]
	v_mov_b32_e32 v33, 0
	s_cbranch_vccnz .LBB17_45
; %bb.17:                               ;   in Loop: Header=BB17_16 Depth=1
	v_mov_b32_e32 v16, v12
	v_mov_b32_e32 v18, v10
	;; [unrolled: 1-line block ×5, first 2 shown]
	s_mov_b64 s[38:39], s[24:25]
	s_branch .LBB17_19
.LBB17_18:                              ;   in Loop: Header=BB17_19 Depth=2
	v_mov_b32_e32 v19, s48
	v_add_co_u32_e32 v17, vcc, s49, v17
	s_add_u32 s38, s38, 1
	v_addc_co_u32_e32 v18, vcc, v18, v19, vcc
	v_mov_b32_e32 v19, s22
	s_addc_u32 s39, s39, 0
	v_mov_b32_e32 v20, s23
	v_cmp_ge_i64_e32 vcc, s[38:39], v[19:20]
	v_mov_b32_e32 v21, s48
	v_add_co_u32_e64 v15, s[6:7], s49, v15
	v_addc_co_u32_e64 v16, s[6:7], v16, v21, s[6:7]
	s_cbranch_vccnz .LBB17_45
.LBB17_19:                              ;   Parent Loop BB17_16 Depth=1
                                        ; =>  This Loop Header: Depth=2
                                        ;       Child Loop BB17_23 Depth 3
	s_lshl_b64 s[6:7], s[38:39], 3
	s_add_u32 s6, s16, s6
	s_addc_u32 s7, s17, s7
	s_load_dwordx2 s[6:7], s[6:7], 0x0
	v_mov_b32_e32 v26, v4
	v_mov_b32_e32 v25, v3
	s_waitcnt lgkmcnt(0)
	s_sub_u32 s40, s6, s47
	s_subb_u32 s41, s7, 0
	v_mad_u64_u32 v[21:22], s[6:7], s40, v32, v[3:4]
	v_mad_u64_u32 v[19:20], s[6:7], s40, v32, v[5:6]
	s_mul_i32 s6, s40, s29
	s_mul_i32 s41, s41, s28
	s_add_i32 s40, s6, s41
	v_add_u32_e32 v22, s40, v22
	v_mul_lo_u32 v23, s14, v22
	v_mul_lo_u32 v24, s15, v21
	v_mad_u64_u32 v[21:22], s[6:7], s14, v21, v[7:8]
	v_add_u32_e32 v20, s40, v20
	s_mov_b64 s[40:41], 0
	v_add3_u32 v22, v24, v22, v23
	v_mov_b32_e32 v24, v16
	v_mov_b32_e32 v23, v15
	s_branch .LBB17_23
.LBB17_20:                              ;   in Loop: Header=BB17_23 Depth=3
	s_or_b64 exec, exec, s[42:43]
.LBB17_21:                              ;   in Loop: Header=BB17_23 Depth=3
	s_or_b64 exec, exec, s[6:7]
.LBB17_22:                              ;   in Loop: Header=BB17_23 Depth=3
	v_add_u32_e32 v35, v28, v29
	s_waitcnt vmcnt(0)
	ds_write_b32 v35, v34
	s_waitcnt lgkmcnt(0)
	s_barrier
	ds_read2_b32 v[42:43], v28 offset1:32
	ds_read_b128 v[34:37], v29 offset:4096
	ds_read2_b32 v[44:45], v28 offset0:64 offset1:96
	ds_read_b128 v[38:41], v29 offset:4112
	v_add_co_u32_e32 v25, vcc, 32, v25
	s_waitcnt lgkmcnt(2)
	v_mul_lo_u32 v50, v34, v42
	v_mul_lo_u32 v51, v35, v43
	s_waitcnt lgkmcnt(1)
	v_mul_lo_u32 v52, v36, v44
	v_mul_lo_u32 v53, v37, v45
	ds_read2_b32 v[46:47], v28 offset0:128 offset1:160
	ds_read_b128 v[34:37], v29 offset:4128
	ds_read_b128 v[42:45], v29 offset:4144
	ds_read2_b32 v[48:49], v28 offset0:192 offset1:224
	v_add3_u32 v33, v50, v33, v51
	v_add_u32_e32 v50, 0x400, v28
	s_waitcnt lgkmcnt(3)
	v_mul_lo_u32 v46, v38, v46
	v_mul_lo_u32 v47, v39, v47
	ds_read2_b32 v[38:39], v50 offset1:32
	s_waitcnt lgkmcnt(1)
	v_mul_lo_u32 v48, v40, v48
	v_mul_lo_u32 v49, v41, v49
	ds_read2_b32 v[40:41], v50 offset0:64 offset1:96
	v_add3_u32 v33, v33, v52, v53
	v_add3_u32 v33, v33, v46, v47
	ds_read2_b32 v[46:47], v50 offset0:128 offset1:160
	s_waitcnt lgkmcnt(2)
	v_mul_lo_u32 v34, v34, v38
	v_mul_lo_u32 v35, v35, v39
	s_waitcnt lgkmcnt(1)
	v_mul_lo_u32 v36, v36, v40
	v_mul_lo_u32 v37, v37, v41
	v_add3_u32 v33, v33, v48, v49
	v_add3_u32 v33, v33, v34, v35
	s_waitcnt lgkmcnt(0)
	v_mul_lo_u32 v39, v42, v46
	v_mul_lo_u32 v40, v43, v47
	v_add3_u32 v33, v33, v36, v37
	ds_read2_b32 v[37:38], v50 offset0:192 offset1:224
	v_add_u32_e32 v47, 0x800, v28
	v_add3_u32 v46, v33, v39, v40
	ds_read2_b32 v[41:42], v47 offset1:32
	ds_read_b128 v[33:36], v29 offset:4160
	v_addc_co_u32_e32 v26, vcc, 0, v26, vcc
	s_waitcnt lgkmcnt(2)
	v_mul_lo_u32 v48, v44, v37
	ds_read2_b32 v[43:44], v47 offset0:64 offset1:96
	v_mul_lo_u32 v45, v45, v38
	ds_read_b128 v[37:40], v29 offset:4176
	s_waitcnt lgkmcnt(2)
	v_mul_lo_u32 v41, v33, v41
	v_mul_lo_u32 v42, v34, v42
	ds_read2_b32 v[33:34], v47 offset0:128 offset1:160
	s_waitcnt lgkmcnt(2)
	v_mul_lo_u32 v43, v35, v43
	v_mul_lo_u32 v44, v36, v44
	ds_read2_b32 v[35:36], v47 offset0:192 offset1:224
	v_add3_u32 v45, v46, v48, v45
	v_add3_u32 v41, v45, v41, v42
	s_waitcnt lgkmcnt(1)
	v_mul_lo_u32 v37, v37, v33
	v_mul_lo_u32 v38, v38, v34
	v_add_u32_e32 v47, 0xc00, v28
	v_add3_u32 v43, v41, v43, v44
	s_waitcnt lgkmcnt(0)
	v_mul_lo_u32 v39, v39, v35
	v_mul_lo_u32 v40, v40, v36
	ds_read2_b32 v[41:42], v47 offset1:32
	ds_read_b128 v[33:36], v29 offset:4192
	v_add3_u32 v37, v43, v37, v38
	v_add_co_u32_e32 v21, vcc, s8, v21
	v_add3_u32 v48, v37, v39, v40
	ds_read2_b32 v[43:44], v47 offset0:64 offset1:96
	ds_read_b128 v[37:40], v29 offset:4208
	ds_read2_b32 v[45:46], v47 offset0:128 offset1:160
	s_waitcnt lgkmcnt(3)
	v_mul_lo_u32 v41, v33, v41
	v_mul_lo_u32 v42, v34, v42
	ds_read2_b32 v[33:34], v47 offset0:192 offset1:224
	s_waitcnt lgkmcnt(3)
	v_mul_lo_u32 v35, v35, v43
	v_mul_lo_u32 v36, v36, v44
	s_waitcnt lgkmcnt(1)
	v_mul_lo_u32 v37, v37, v45
	v_mul_lo_u32 v38, v38, v46
	;; [unrolled: 3-line block ×3, first 2 shown]
	v_add3_u32 v39, v48, v41, v42
	v_add3_u32 v35, v39, v35, v36
	;; [unrolled: 1-line block ×4, first 2 shown]
	v_mov_b32_e32 v34, s9
	s_add_u32 s40, s40, 32
	v_addc_co_u32_e32 v22, vcc, v22, v34, vcc
	v_mov_b32_e32 v35, s29
	s_addc_u32 s41, s41, 0
	v_mov_b32_e32 v34, s28
	v_cmp_ge_i64_e32 vcc, s[40:41], v[34:35]
	v_mov_b32_e32 v36, s13
	v_add_co_u32_e64 v23, s[6:7], s12, v23
	v_addc_co_u32_e64 v24, s[6:7], v24, v36, s[6:7]
	s_barrier
	s_cbranch_vccnz .LBB17_18
.LBB17_23:                              ;   Parent Loop BB17_16 Depth=1
                                        ;     Parent Loop BB17_19 Depth=2
                                        ; =>    This Inner Loop Header: Depth=3
	s_mov_b64 s[6:7], -1
	s_and_b64 vcc, exec, s[30:31]
                                        ; implicit-def: $vgpr34
	s_cbranch_vccnz .LBB17_31
; %bb.24:                               ;   in Loop: Header=BB17_23 Depth=3
	s_andn2_b64 vcc, exec, s[6:7]
	s_cbranch_vccz .LBB17_36
.LBB17_25:                              ;   in Loop: Header=BB17_23 Depth=3
	s_and_b64 vcc, exec, s[26:27]
	s_waitcnt vmcnt(0)
	ds_write_b32 v2, v34
	s_cbranch_vccz .LBB17_41
.LBB17_26:                              ;   in Loop: Header=BB17_23 Depth=3
	v_mov_b32_e32 v34, 0
	s_and_saveexec_b64 s[6:7], s[4:5]
	s_cbranch_execz .LBB17_30
; %bb.27:                               ;   in Loop: Header=BB17_23 Depth=3
	v_mov_b32_e32 v35, s41
	v_add_co_u32_e32 v34, vcc, s40, v1
	v_addc_co_u32_e32 v35, vcc, 0, v35, vcc
	v_cmp_gt_i64_e32 vcc, s[28:29], v[34:35]
	v_mov_b32_e32 v34, 0
	s_and_saveexec_b64 s[42:43], vcc
	s_cbranch_execz .LBB17_29
; %bb.28:                               ;   in Loop: Header=BB17_23 Depth=3
	global_load_sbyte v34, v[23:24], off
.LBB17_29:                              ;   in Loop: Header=BB17_23 Depth=3
	s_or_b64 exec, exec, s[42:43]
.LBB17_30:                              ;   in Loop: Header=BB17_23 Depth=3
	s_or_b64 exec, exec, s[6:7]
	s_cbranch_execnz .LBB17_22
	s_branch .LBB17_42
.LBB17_31:                              ;   in Loop: Header=BB17_23 Depth=3
	v_mov_b32_e32 v34, 0
	s_and_saveexec_b64 s[6:7], s[0:1]
	s_cbranch_execz .LBB17_35
; %bb.32:                               ;   in Loop: Header=BB17_23 Depth=3
	v_cmp_gt_i64_e32 vcc, s[28:29], v[25:26]
	v_mov_b32_e32 v34, 0
	s_and_saveexec_b64 s[42:43], vcc
	s_cbranch_execz .LBB17_34
; %bb.33:                               ;   in Loop: Header=BB17_23 Depth=3
	global_load_sbyte v34, v[21:22], off
.LBB17_34:                              ;   in Loop: Header=BB17_23 Depth=3
	s_or_b64 exec, exec, s[42:43]
.LBB17_35:                              ;   in Loop: Header=BB17_23 Depth=3
	s_or_b64 exec, exec, s[6:7]
	s_cbranch_execnz .LBB17_25
.LBB17_36:                              ;   in Loop: Header=BB17_23 Depth=3
	s_waitcnt vmcnt(0)
	v_mov_b32_e32 v34, 0
	s_and_saveexec_b64 s[6:7], s[0:1]
	s_cbranch_execz .LBB17_40
; %bb.37:                               ;   in Loop: Header=BB17_23 Depth=3
	v_cmp_gt_i64_e32 vcc, s[28:29], v[25:26]
	v_mov_b32_e32 v34, 0
	s_and_saveexec_b64 s[42:43], vcc
	s_cbranch_execz .LBB17_39
; %bb.38:                               ;   in Loop: Header=BB17_23 Depth=3
	v_add_co_u32_e32 v34, vcc, v19, v25
	v_addc_co_u32_e32 v35, vcc, v20, v26, vcc
	global_load_sbyte v34, v[34:35], off
.LBB17_39:                              ;   in Loop: Header=BB17_23 Depth=3
	s_or_b64 exec, exec, s[42:43]
.LBB17_40:                              ;   in Loop: Header=BB17_23 Depth=3
	s_or_b64 exec, exec, s[6:7]
	s_and_b64 vcc, exec, s[26:27]
	s_waitcnt vmcnt(0)
	ds_write_b32 v2, v34
	s_cbranch_vccnz .LBB17_26
.LBB17_41:                              ;   in Loop: Header=BB17_23 Depth=3
                                        ; implicit-def: $vgpr34
.LBB17_42:                              ;   in Loop: Header=BB17_23 Depth=3
	s_waitcnt vmcnt(0)
	v_mov_b32_e32 v34, 0
	s_and_saveexec_b64 s[6:7], s[4:5]
	s_cbranch_execz .LBB17_21
; %bb.43:                               ;   in Loop: Header=BB17_23 Depth=3
	v_mov_b32_e32 v35, s41
	v_add_co_u32_e32 v34, vcc, s40, v1
	v_addc_co_u32_e32 v35, vcc, 0, v35, vcc
	v_cmp_gt_i64_e32 vcc, s[28:29], v[34:35]
	v_mov_b32_e32 v34, 0
	s_and_saveexec_b64 s[42:43], vcc
	s_cbranch_execz .LBB17_20
; %bb.44:                               ;   in Loop: Header=BB17_23 Depth=3
	v_mov_b32_e32 v35, s41
	v_add_co_u32_e32 v34, vcc, s40, v17
	v_addc_co_u32_e32 v35, vcc, v18, v35, vcc
	global_load_sbyte v34, v[34:35], off
	s_branch .LBB17_20
.LBB17_45:                              ;   in Loop: Header=BB17_16 Depth=1
	v_cmp_gt_i64_e32 vcc, s[28:29], v[13:14]
	s_and_b64 s[6:7], s[34:35], vcc
	s_and_saveexec_b64 s[4:5], s[6:7]
	s_cbranch_execz .LBB17_15
; %bb.46:                               ;   in Loop: Header=BB17_16 Depth=1
	v_mov_b32_e32 v15, s45
	v_add_co_u32_e32 v13, vcc, s46, v13
	v_addc_co_u32_e32 v14, vcc, v14, v15, vcc
	s_mov_b64 s[6:7], -1
	s_and_b64 vcc, exec, s[36:37]
	s_cbranch_vccz .LBB17_52
; %bb.47:                               ;   in Loop: Header=BB17_16 Depth=1
	s_and_b64 vcc, exec, s[20:21]
	s_cbranch_vccz .LBB17_49
; %bb.48:                               ;   in Loop: Header=BB17_16 Depth=1
	v_mul_lo_u32 v17, v14, s10
	v_mul_lo_u32 v18, v13, s11
	v_mad_u64_u32 v[15:16], s[6:7], v13, s10, 0
	v_add3_u32 v16, v16, v18, v17
	v_lshlrev_b64 v[15:16], 2, v[15:16]
	v_mul_lo_u32 v17, v33, s33
	v_add_co_u32_e32 v15, vcc, v0, v15
	v_addc_co_u32_e32 v16, vcc, v27, v16, vcc
	global_load_dword v18, v[15:16], off
	s_waitcnt vmcnt(0)
	v_mad_u64_u32 v[17:18], s[6:7], v18, s44, v[17:18]
	s_mov_b64 s[6:7], 0
	global_store_dword v[15:16], v17, off
.LBB17_49:                              ;   in Loop: Header=BB17_16 Depth=1
	s_andn2_b64 vcc, exec, s[6:7]
	s_cbranch_vccnz .LBB17_51
; %bb.50:                               ;   in Loop: Header=BB17_16 Depth=1
	v_lshlrev_b64 v[15:16], 2, v[13:14]
	v_mul_lo_u32 v17, v33, s33
	v_add_co_u32_e32 v15, vcc, v30, v15
	v_addc_co_u32_e32 v16, vcc, v31, v16, vcc
	global_load_dword v18, v[15:16], off
	s_waitcnt vmcnt(0)
	v_mad_u64_u32 v[17:18], s[6:7], v18, s44, v[17:18]
	global_store_dword v[15:16], v17, off
.LBB17_51:                              ;   in Loop: Header=BB17_16 Depth=1
	s_mov_b64 s[6:7], 0
.LBB17_52:                              ;   in Loop: Header=BB17_16 Depth=1
	s_andn2_b64 vcc, exec, s[6:7]
	s_cbranch_vccnz .LBB17_15
; %bb.53:                               ;   in Loop: Header=BB17_16 Depth=1
	v_mul_lo_u32 v15, v33, s33
	s_mov_b64 s[6:7], -1
	s_and_b64 vcc, exec, s[20:21]
	s_cbranch_vccz .LBB17_55
; %bb.54:                               ;   in Loop: Header=BB17_16 Depth=1
	v_mul_lo_u32 v18, v14, s10
	v_mul_lo_u32 v19, v13, s11
	v_mad_u64_u32 v[16:17], s[6:7], v13, s10, 0
	s_mov_b64 s[6:7], 0
	v_add3_u32 v17, v17, v19, v18
	v_lshlrev_b64 v[16:17], 2, v[16:17]
	v_add_co_u32_e32 v16, vcc, v0, v16
	v_addc_co_u32_e32 v17, vcc, v27, v17, vcc
	global_store_dword v[16:17], v15, off
.LBB17_55:                              ;   in Loop: Header=BB17_16 Depth=1
	s_andn2_b64 vcc, exec, s[6:7]
	s_cbranch_vccnz .LBB17_15
; %bb.56:                               ;   in Loop: Header=BB17_16 Depth=1
	v_lshlrev_b64 v[13:14], 2, v[13:14]
	v_add_co_u32_e32 v13, vcc, v30, v13
	v_addc_co_u32_e32 v14, vcc, v31, v14, vcc
	global_store_dword v[13:14], v15, off
	s_branch .LBB17_15
.LBB17_57:
	s_endpgm
	.section	.rodata,"a",@progbits
	.p2align	6, 0x0
	.amdhsa_kernel _ZN9rocsparseL29bsrmm_general_blockdim_kernelILj32ELj32EllaaiiEEvb20rocsparse_direction_T2_S2_llNS_24const_host_device_scalarIT6_EEPKT1_PKS2_PKT3_S2_PKT4_llS5_PT5_ll16rocsparse_order_21rocsparse_index_base_b
		.amdhsa_group_segment_fixed_size 8192
		.amdhsa_private_segment_fixed_size 0
		.amdhsa_kernarg_size 148
		.amdhsa_user_sgpr_count 6
		.amdhsa_user_sgpr_private_segment_buffer 1
		.amdhsa_user_sgpr_dispatch_ptr 0
		.amdhsa_user_sgpr_queue_ptr 0
		.amdhsa_user_sgpr_kernarg_segment_ptr 1
		.amdhsa_user_sgpr_dispatch_id 0
		.amdhsa_user_sgpr_flat_scratch_init 0
		.amdhsa_user_sgpr_private_segment_size 0
		.amdhsa_uses_dynamic_stack 0
		.amdhsa_system_sgpr_private_segment_wavefront_offset 0
		.amdhsa_system_sgpr_workgroup_id_x 1
		.amdhsa_system_sgpr_workgroup_id_y 1
		.amdhsa_system_sgpr_workgroup_id_z 0
		.amdhsa_system_sgpr_workgroup_info 0
		.amdhsa_system_vgpr_workitem_id 1
		.amdhsa_next_free_vgpr 54
		.amdhsa_next_free_sgpr 61
		.amdhsa_reserve_vcc 1
		.amdhsa_reserve_flat_scratch 0
		.amdhsa_float_round_mode_32 0
		.amdhsa_float_round_mode_16_64 0
		.amdhsa_float_denorm_mode_32 3
		.amdhsa_float_denorm_mode_16_64 3
		.amdhsa_dx10_clamp 1
		.amdhsa_ieee_mode 1
		.amdhsa_fp16_overflow 0
		.amdhsa_exception_fp_ieee_invalid_op 0
		.amdhsa_exception_fp_denorm_src 0
		.amdhsa_exception_fp_ieee_div_zero 0
		.amdhsa_exception_fp_ieee_overflow 0
		.amdhsa_exception_fp_ieee_underflow 0
		.amdhsa_exception_fp_ieee_inexact 0
		.amdhsa_exception_int_div_zero 0
	.end_amdhsa_kernel
	.section	.text._ZN9rocsparseL29bsrmm_general_blockdim_kernelILj32ELj32EllaaiiEEvb20rocsparse_direction_T2_S2_llNS_24const_host_device_scalarIT6_EEPKT1_PKS2_PKT3_S2_PKT4_llS5_PT5_ll16rocsparse_order_21rocsparse_index_base_b,"axG",@progbits,_ZN9rocsparseL29bsrmm_general_blockdim_kernelILj32ELj32EllaaiiEEvb20rocsparse_direction_T2_S2_llNS_24const_host_device_scalarIT6_EEPKT1_PKS2_PKT3_S2_PKT4_llS5_PT5_ll16rocsparse_order_21rocsparse_index_base_b,comdat
.Lfunc_end17:
	.size	_ZN9rocsparseL29bsrmm_general_blockdim_kernelILj32ELj32EllaaiiEEvb20rocsparse_direction_T2_S2_llNS_24const_host_device_scalarIT6_EEPKT1_PKS2_PKT3_S2_PKT4_llS5_PT5_ll16rocsparse_order_21rocsparse_index_base_b, .Lfunc_end17-_ZN9rocsparseL29bsrmm_general_blockdim_kernelILj32ELj32EllaaiiEEvb20rocsparse_direction_T2_S2_llNS_24const_host_device_scalarIT6_EEPKT1_PKS2_PKT3_S2_PKT4_llS5_PT5_ll16rocsparse_order_21rocsparse_index_base_b
                                        ; -- End function
	.set _ZN9rocsparseL29bsrmm_general_blockdim_kernelILj32ELj32EllaaiiEEvb20rocsparse_direction_T2_S2_llNS_24const_host_device_scalarIT6_EEPKT1_PKS2_PKT3_S2_PKT4_llS5_PT5_ll16rocsparse_order_21rocsparse_index_base_b.num_vgpr, 54
	.set _ZN9rocsparseL29bsrmm_general_blockdim_kernelILj32ELj32EllaaiiEEvb20rocsparse_direction_T2_S2_llNS_24const_host_device_scalarIT6_EEPKT1_PKS2_PKT3_S2_PKT4_llS5_PT5_ll16rocsparse_order_21rocsparse_index_base_b.num_agpr, 0
	.set _ZN9rocsparseL29bsrmm_general_blockdim_kernelILj32ELj32EllaaiiEEvb20rocsparse_direction_T2_S2_llNS_24const_host_device_scalarIT6_EEPKT1_PKS2_PKT3_S2_PKT4_llS5_PT5_ll16rocsparse_order_21rocsparse_index_base_b.numbered_sgpr, 50
	.set _ZN9rocsparseL29bsrmm_general_blockdim_kernelILj32ELj32EllaaiiEEvb20rocsparse_direction_T2_S2_llNS_24const_host_device_scalarIT6_EEPKT1_PKS2_PKT3_S2_PKT4_llS5_PT5_ll16rocsparse_order_21rocsparse_index_base_b.num_named_barrier, 0
	.set _ZN9rocsparseL29bsrmm_general_blockdim_kernelILj32ELj32EllaaiiEEvb20rocsparse_direction_T2_S2_llNS_24const_host_device_scalarIT6_EEPKT1_PKS2_PKT3_S2_PKT4_llS5_PT5_ll16rocsparse_order_21rocsparse_index_base_b.private_seg_size, 0
	.set _ZN9rocsparseL29bsrmm_general_blockdim_kernelILj32ELj32EllaaiiEEvb20rocsparse_direction_T2_S2_llNS_24const_host_device_scalarIT6_EEPKT1_PKS2_PKT3_S2_PKT4_llS5_PT5_ll16rocsparse_order_21rocsparse_index_base_b.uses_vcc, 1
	.set _ZN9rocsparseL29bsrmm_general_blockdim_kernelILj32ELj32EllaaiiEEvb20rocsparse_direction_T2_S2_llNS_24const_host_device_scalarIT6_EEPKT1_PKS2_PKT3_S2_PKT4_llS5_PT5_ll16rocsparse_order_21rocsparse_index_base_b.uses_flat_scratch, 0
	.set _ZN9rocsparseL29bsrmm_general_blockdim_kernelILj32ELj32EllaaiiEEvb20rocsparse_direction_T2_S2_llNS_24const_host_device_scalarIT6_EEPKT1_PKS2_PKT3_S2_PKT4_llS5_PT5_ll16rocsparse_order_21rocsparse_index_base_b.has_dyn_sized_stack, 0
	.set _ZN9rocsparseL29bsrmm_general_blockdim_kernelILj32ELj32EllaaiiEEvb20rocsparse_direction_T2_S2_llNS_24const_host_device_scalarIT6_EEPKT1_PKS2_PKT3_S2_PKT4_llS5_PT5_ll16rocsparse_order_21rocsparse_index_base_b.has_recursion, 0
	.set _ZN9rocsparseL29bsrmm_general_blockdim_kernelILj32ELj32EllaaiiEEvb20rocsparse_direction_T2_S2_llNS_24const_host_device_scalarIT6_EEPKT1_PKS2_PKT3_S2_PKT4_llS5_PT5_ll16rocsparse_order_21rocsparse_index_base_b.has_indirect_call, 0
	.section	.AMDGPU.csdata,"",@progbits
; Kernel info:
; codeLenInByte = 2492
; TotalNumSgprs: 54
; NumVgprs: 54
; ScratchSize: 0
; MemoryBound: 0
; FloatMode: 240
; IeeeMode: 1
; LDSByteSize: 8192 bytes/workgroup (compile time only)
; SGPRBlocks: 8
; VGPRBlocks: 13
; NumSGPRsForWavesPerEU: 65
; NumVGPRsForWavesPerEU: 54
; Occupancy: 4
; WaveLimiterHint : 1
; COMPUTE_PGM_RSRC2:SCRATCH_EN: 0
; COMPUTE_PGM_RSRC2:USER_SGPR: 6
; COMPUTE_PGM_RSRC2:TRAP_HANDLER: 0
; COMPUTE_PGM_RSRC2:TGID_X_EN: 1
; COMPUTE_PGM_RSRC2:TGID_Y_EN: 1
; COMPUTE_PGM_RSRC2:TGID_Z_EN: 0
; COMPUTE_PGM_RSRC2:TIDIG_COMP_CNT: 1
	.section	.text._ZN9rocsparseL29bsrmm_general_blockdim_kernelILj32ELj32EiiaaffEEvb20rocsparse_direction_T2_S2_llNS_24const_host_device_scalarIT6_EEPKT1_PKS2_PKT3_S2_PKT4_llS5_PT5_ll16rocsparse_order_21rocsparse_index_base_b,"axG",@progbits,_ZN9rocsparseL29bsrmm_general_blockdim_kernelILj32ELj32EiiaaffEEvb20rocsparse_direction_T2_S2_llNS_24const_host_device_scalarIT6_EEPKT1_PKS2_PKT3_S2_PKT4_llS5_PT5_ll16rocsparse_order_21rocsparse_index_base_b,comdat
	.globl	_ZN9rocsparseL29bsrmm_general_blockdim_kernelILj32ELj32EiiaaffEEvb20rocsparse_direction_T2_S2_llNS_24const_host_device_scalarIT6_EEPKT1_PKS2_PKT3_S2_PKT4_llS5_PT5_ll16rocsparse_order_21rocsparse_index_base_b ; -- Begin function _ZN9rocsparseL29bsrmm_general_blockdim_kernelILj32ELj32EiiaaffEEvb20rocsparse_direction_T2_S2_llNS_24const_host_device_scalarIT6_EEPKT1_PKS2_PKT3_S2_PKT4_llS5_PT5_ll16rocsparse_order_21rocsparse_index_base_b
	.p2align	8
	.type	_ZN9rocsparseL29bsrmm_general_blockdim_kernelILj32ELj32EiiaaffEEvb20rocsparse_direction_T2_S2_llNS_24const_host_device_scalarIT6_EEPKT1_PKS2_PKT3_S2_PKT4_llS5_PT5_ll16rocsparse_order_21rocsparse_index_base_b,@function
_ZN9rocsparseL29bsrmm_general_blockdim_kernelILj32ELj32EiiaaffEEvb20rocsparse_direction_T2_S2_llNS_24const_host_device_scalarIT6_EEPKT1_PKS2_PKT3_S2_PKT4_llS5_PT5_ll16rocsparse_order_21rocsparse_index_base_b: ; @_ZN9rocsparseL29bsrmm_general_blockdim_kernelILj32ELj32EiiaaffEEvb20rocsparse_direction_T2_S2_llNS_24const_host_device_scalarIT6_EEPKT1_PKS2_PKT3_S2_PKT4_llS5_PT5_ll16rocsparse_order_21rocsparse_index_base_b
; %bb.0:
	s_load_dwordx4 s[8:11], s[4:5], 0x80
	s_mov_b32 s0, s7
	s_waitcnt lgkmcnt(0)
	s_bitcmp1_b32 s10, 0
	s_load_dwordx2 s[10:11], s[4:5], 0x20
	s_load_dwordx2 s[28:29], s[4:5], 0x60
	s_cselect_b64 s[12:13], -1, 0
	s_xor_b64 s[2:3], s[12:13], -1
	s_and_b64 vcc, exec, s[12:13]
	s_cbranch_vccnz .LBB18_2
; %bb.1:
	s_waitcnt lgkmcnt(0)
	s_load_dword s10, s[10:11], 0x0
.LBB18_2:
	s_andn2_b64 vcc, exec, s[2:3]
	s_cbranch_vccnz .LBB18_4
; %bb.3:
	s_waitcnt lgkmcnt(0)
	s_load_dword s28, s[28:29], 0x0
.LBB18_4:
	s_waitcnt lgkmcnt(0)
	v_cmp_eq_f32_e64 s[2:3], s10, 0
	v_cmp_eq_f32_e64 s[12:13], s28, 1.0
	s_and_b64 s[2:3], s[2:3], s[12:13]
	s_mov_b32 s11, 0
	s_and_b64 vcc, exec, s[2:3]
	s_cbranch_vccnz .LBB18_55
; %bb.5:
	s_load_dwordx4 s[24:27], s[4:5], 0x0
	s_load_dwordx2 s[12:13], s[4:5], 0x28
	s_waitcnt lgkmcnt(0)
	s_cmp_lt_i32 s6, s26
	s_cselect_b64 s[2:3], -1, 0
	s_cmp_ge_i32 s6, s26
	s_cbranch_scc0 .LBB18_8
; %bb.6:
	s_andn2_b64 vcc, exec, s[2:3]
	s_mov_b32 s29, 0
	s_cbranch_vccz .LBB18_9
.LBB18_7:
	s_load_dword s33, s[4:5], 0x40
	s_waitcnt lgkmcnt(0)
	s_cmp_lt_i32 s33, 1
	s_cbranch_scc0 .LBB18_10
	s_branch .LBB18_55
.LBB18_8:
	s_ashr_i32 s7, s6, 31
	s_lshl_b64 s[14:15], s[6:7], 2
	s_add_u32 s14, s12, s14
	s_addc_u32 s15, s13, s15
	s_load_dword s1, s[14:15], 0x0
	s_waitcnt lgkmcnt(0)
	s_sub_i32 s11, s1, s9
	s_andn2_b64 vcc, exec, s[2:3]
	s_mov_b32 s29, 0
	s_cbranch_vccnz .LBB18_7
.LBB18_9:
	s_ashr_i32 s7, s6, 31
	s_lshl_b64 s[14:15], s[6:7], 2
	s_add_u32 s12, s12, s14
	s_addc_u32 s13, s13, s15
	s_load_dword s1, s[12:13], 0x4
	s_waitcnt lgkmcnt(0)
	s_sub_i32 s29, s1, s9
	s_load_dword s33, s[4:5], 0x40
	s_waitcnt lgkmcnt(0)
	s_cmp_lt_i32 s33, 1
	s_cbranch_scc1 .LBB18_55
.LBB18_10:
	s_load_dwordx4 s[12:15], s[4:5], 0x68
	s_load_dwordx4 s[16:19], s[4:5], 0x30
	;; [unrolled: 1-line block ×3, first 2 shown]
	v_lshl_add_u32 v6, s0, 5, v1
	s_bitcmp1_b32 s24, 0
	v_ashrrev_i32_e32 v7, 31, v6
	s_cselect_b64 s[4:5], -1, 0
	s_waitcnt lgkmcnt(0)
	v_mov_b32_e32 v2, s20
	v_mov_b32_e32 v3, s21
	s_mul_i32 s42, s33, s6
	v_mul_lo_u32 v8, s22, v7
	v_mul_lo_u32 v9, s23, v6
	v_mad_u64_u32 v[2:3], s[6:7], s22, v6, v[2:3]
	s_xor_b64 s[30:31], s[4:5], -1
	s_cmp_lt_i32 s11, s29
	s_cselect_b64 s[4:5], -1, 0
	v_cmp_gt_i32_e64 s[0:1], s27, v6
	v_mov_b32_e32 v5, s21
	v_add_co_u32_e32 v4, vcc, s20, v6
	s_cmp_lg_u32 s25, 0
	v_addc_co_u32_e32 v5, vcc, v5, v7, vcc
	v_add3_u32 v3, v9, v3, v8
	s_cselect_b64 s[6:7], -1, 0
	s_and_b64 s[20:21], s[2:3], s[0:1]
	v_lshlrev_b64 v[8:9], 2, v[6:7]
	v_mul_lo_u32 v14, s14, v7
	v_mul_lo_u32 v15, s15, v6
	v_mad_u64_u32 v[6:7], s[2:3], s14, v6, 0
	v_mov_b32_e32 v13, s13
	v_add_co_u32_e32 v12, vcc, s12, v8
	v_add3_u32 v7, v7, v14, v15
	v_lshlrev_b64 v[6:7], 2, v[6:7]
	v_addc_co_u32_e32 v13, vcc, v13, v9, vcc
	s_mul_i32 s2, s11, s33
	v_mov_b32_e32 v8, s13
	v_add_co_u32_e32 v14, vcc, s12, v6
	v_add_u32_e32 v6, s2, v0
	v_addc_co_u32_e32 v15, vcc, v8, v7, vcc
	v_mad_u64_u32 v[6:7], s[2:3], s33, v6, v[1:2]
	v_lshlrev_b32_e32 v10, 2, v0
	v_or_b32_e32 v16, 0x1000, v10
	v_lshlrev_b32_e32 v11, 7, v1
	s_cmp_lg_u32 s8, 1
	v_cndmask_b32_e64 v7, 0, 1, s[4:5]
	s_mov_b32 s43, 0
	v_cmp_neq_f32_e64 s[24:25], s28, 0
	s_cselect_b64 s[26:27], -1, 0
	s_lshl_b32 s8, s33, 5
	s_mul_i32 s44, s33, s33
	v_cmp_ne_u32_e64 s[2:3], 1, v7
	v_add_u32_e32 v16, v16, v11
	s_branch .LBB18_12
.LBB18_11:                              ;   in Loop: Header=BB18_12 Depth=1
	s_or_b64 exec, exec, s[4:5]
	s_add_i32 s43, s43, 32
	s_cmp_lt_i32 s43, s33
	v_add_u32_e32 v6, s8, v6
	s_cbranch_scc0 .LBB18_55
.LBB18_12:                              ; =>This Loop Header: Depth=1
                                        ;     Child Loop BB18_15 Depth 2
                                        ;       Child Loop BB18_17 Depth 3
	v_add_u32_e32 v7, s43, v0
	v_mov_b32_e32 v17, 0
	s_and_b64 vcc, exec, s[2:3]
	v_cmp_gt_i32_e64 s[4:5], s33, v7
	s_cbranch_vccnz .LBB18_43
; %bb.13:                               ;   in Loop: Header=BB18_12 Depth=1
	v_mov_b32_e32 v17, 0
	v_mov_b32_e32 v18, v6
	s_mov_b32 s12, s11
	s_branch .LBB18_15
.LBB18_14:                              ;   in Loop: Header=BB18_15 Depth=2
	s_add_i32 s12, s12, 1
	s_cmp_ge_i32 s12, s29
	v_add_u32_e32 v18, s44, v18
	s_cbranch_scc1 .LBB18_43
.LBB18_15:                              ;   Parent Loop BB18_12 Depth=1
                                        ; =>  This Loop Header: Depth=2
                                        ;       Child Loop BB18_17 Depth 3
	s_ashr_i32 s13, s12, 31
	s_lshl_b64 s[34:35], s[12:13], 2
	s_add_u32 s34, s16, s34
	s_addc_u32 s35, s17, s35
	s_load_dword s34, s[34:35], 0x0
	s_mul_i32 s13, s12, s33
	s_mov_b32 s45, 0
	s_waitcnt lgkmcnt(0)
	s_sub_i32 s34, s34, s9
	s_mul_i32 s34, s34, s33
	v_add_u32_e32 v19, s34, v0
	s_branch .LBB18_17
.LBB18_16:                              ;   in Loop: Header=BB18_17 Depth=3
	s_or_b64 exec, exec, s[36:37]
	v_add_u32_e32 v8, v10, v11
	ds_write_b32 v8, v9
	s_waitcnt vmcnt(0) lgkmcnt(0)
	s_barrier
	ds_read2_b32 v[8:9], v10 offset1:32
	ds_read_b128 v[20:23], v11 offset:4096
	ds_read_b128 v[24:27], v11 offset:4112
	ds_read2_b32 v[36:37], v10 offset0:64 offset1:96
	ds_read_b128 v[28:31], v11 offset:4128
	ds_read_b128 v[32:35], v11 offset:4144
	ds_read2_b32 v[38:39], v10 offset0:128 offset1:160
	s_waitcnt lgkmcnt(5)
	v_fmac_f32_e32 v17, v8, v20
	v_fmac_f32_e32 v17, v9, v21
	ds_read2_b32 v[8:9], v10 offset0:192 offset1:224
	s_waitcnt lgkmcnt(4)
	v_fmac_f32_e32 v17, v36, v22
	v_fmac_f32_e32 v17, v37, v23
	s_waitcnt lgkmcnt(1)
	v_fmac_f32_e32 v17, v38, v24
	v_add_u32_e32 v24, 0x400, v10
	ds_read2_b32 v[20:21], v24 offset1:32
	v_fmac_f32_e32 v17, v39, v25
	s_waitcnt lgkmcnt(1)
	v_fmac_f32_e32 v17, v8, v26
	v_fmac_f32_e32 v17, v9, v27
	ds_read2_b32 v[8:9], v24 offset0:64 offset1:96
	ds_read2_b32 v[22:23], v24 offset0:128 offset1:160
	s_waitcnt lgkmcnt(2)
	v_fmac_f32_e32 v17, v20, v28
	v_fmac_f32_e32 v17, v21, v29
	ds_read2_b32 v[24:25], v24 offset0:192 offset1:224
	s_waitcnt lgkmcnt(2)
	v_fmac_f32_e32 v17, v8, v30
	v_fmac_f32_e32 v17, v9, v31
	s_waitcnt lgkmcnt(1)
	v_fmac_f32_e32 v17, v22, v32
	v_add_u32_e32 v32, 0x800, v10
	v_fmac_f32_e32 v17, v23, v33
	ds_read2_b32 v[8:9], v32 offset1:32
	ds_read_b128 v[20:23], v11 offset:4160
	s_waitcnt lgkmcnt(2)
	v_fmac_f32_e32 v17, v24, v34
	v_fmac_f32_e32 v17, v25, v35
	ds_read2_b32 v[28:29], v32 offset0:64 offset1:96
	ds_read2_b32 v[30:31], v32 offset0:128 offset1:160
	ds_read_b128 v[24:27], v11 offset:4176
	s_add_i32 s45, s45, 32
	s_waitcnt lgkmcnt(3)
	v_fmac_f32_e32 v17, v8, v20
	v_fmac_f32_e32 v17, v9, v21
	ds_read2_b32 v[8:9], v32 offset0:192 offset1:224
	s_waitcnt lgkmcnt(3)
	v_fmac_f32_e32 v17, v28, v22
	v_fmac_f32_e32 v17, v29, v23
	v_add_u32_e32 v32, 0xc00, v10
	s_waitcnt lgkmcnt(1)
	v_fmac_f32_e32 v17, v30, v24
	ds_read2_b32 v[28:29], v32 offset1:32
	ds_read_b128 v[20:23], v11 offset:4192
	v_fmac_f32_e32 v17, v31, v25
	s_waitcnt lgkmcnt(2)
	v_fmac_f32_e32 v17, v8, v26
	v_fmac_f32_e32 v17, v9, v27
	ds_read2_b32 v[8:9], v32 offset0:64 offset1:96
	ds_read_b128 v[24:27], v11 offset:4208
	ds_read2_b32 v[30:31], v32 offset0:128 offset1:160
	s_waitcnt lgkmcnt(3)
	v_fmac_f32_e32 v17, v28, v20
	v_fmac_f32_e32 v17, v29, v21
	ds_read2_b32 v[20:21], v32 offset0:192 offset1:224
	s_waitcnt lgkmcnt(3)
	v_fmac_f32_e32 v17, v8, v22
	v_fmac_f32_e32 v17, v9, v23
	s_waitcnt lgkmcnt(1)
	v_fmac_f32_e32 v17, v30, v24
	v_fmac_f32_e32 v17, v31, v25
	;; [unrolled: 3-line block ×3, first 2 shown]
	s_cmp_ge_i32 s45, s33
	s_barrier
	s_cbranch_scc1 .LBB18_14
.LBB18_17:                              ;   Parent Loop BB18_12 Depth=1
                                        ;     Parent Loop BB18_15 Depth=2
                                        ; =>    This Inner Loop Header: Depth=3
	s_mov_b64 s[34:35], -1
	s_and_b64 vcc, exec, s[30:31]
                                        ; implicit-def: $vgpr8
	s_cbranch_vccnz .LBB18_26
; %bb.18:                               ;   in Loop: Header=BB18_17 Depth=3
	s_andn2_b64 vcc, exec, s[34:35]
	s_cbranch_vccz .LBB18_31
.LBB18_19:                              ;   in Loop: Header=BB18_17 Depth=3
	s_and_b64 vcc, exec, s[6:7]
	ds_write_b32 v16, v8
	s_cbranch_vccz .LBB18_36
.LBB18_20:                              ;   in Loop: Header=BB18_17 Depth=3
	s_mov_b64 s[36:37], 0
	s_mov_b64 s[34:35], 0
                                        ; implicit-def: $vgpr8
	s_and_saveexec_b64 s[38:39], s[4:5]
	s_cbranch_execz .LBB18_24
; %bb.21:                               ;   in Loop: Header=BB18_17 Depth=3
	v_add_u32_e32 v9, s45, v1
	v_cmp_gt_i32_e32 vcc, s33, v9
                                        ; implicit-def: $vgpr8
	s_and_saveexec_b64 s[40:41], vcc
	s_xor_b64 s[40:41], exec, s[40:41]
; %bb.22:                               ;   in Loop: Header=BB18_17 Depth=3
	v_add_u32_e32 v8, s13, v9
	s_mov_b64 s[34:35], exec
	v_mad_u64_u32 v[8:9], s[46:47], v8, s33, v[7:8]
; %bb.23:                               ;   in Loop: Header=BB18_17 Depth=3
	s_or_b64 exec, exec, s[40:41]
	s_and_b64 s[34:35], s[34:35], exec
.LBB18_24:                              ;   in Loop: Header=BB18_17 Depth=3
	s_or_b64 exec, exec, s[38:39]
	s_and_b64 vcc, exec, s[36:37]
	s_cbranch_vccnz .LBB18_37
.LBB18_25:                              ;   in Loop: Header=BB18_17 Depth=3
	v_mov_b32_e32 v9, 0
	s_and_saveexec_b64 s[36:37], s[34:35]
	s_cbranch_execz .LBB18_16
	s_branch .LBB18_42
.LBB18_26:                              ;   in Loop: Header=BB18_17 Depth=3
	v_mov_b32_e32 v8, 0
	s_and_saveexec_b64 s[34:35], s[0:1]
	s_cbranch_execz .LBB18_30
; %bb.27:                               ;   in Loop: Header=BB18_17 Depth=3
	v_add_u32_e32 v8, s45, v0
	v_cmp_gt_i32_e32 vcc, s33, v8
	v_mov_b32_e32 v8, 0
	s_and_saveexec_b64 s[36:37], vcc
	s_cbranch_execz .LBB18_29
; %bb.28:                               ;   in Loop: Header=BB18_17 Depth=3
	v_add_u32_e32 v8, s45, v19
	v_ashrrev_i32_e32 v9, 31, v8
	v_mul_lo_u32 v20, s22, v9
	v_mul_lo_u32 v21, s23, v8
	v_mad_u64_u32 v[8:9], s[38:39], s22, v8, v[4:5]
	v_add3_u32 v9, v21, v9, v20
	global_load_sbyte v8, v[8:9], off
	s_waitcnt vmcnt(0)
	v_cvt_f32_i32_e32 v8, v8
.LBB18_29:                              ;   in Loop: Header=BB18_17 Depth=3
	s_or_b64 exec, exec, s[36:37]
.LBB18_30:                              ;   in Loop: Header=BB18_17 Depth=3
	s_or_b64 exec, exec, s[34:35]
	s_cbranch_execnz .LBB18_19
.LBB18_31:                              ;   in Loop: Header=BB18_17 Depth=3
	v_mov_b32_e32 v8, 0
	s_and_saveexec_b64 s[34:35], s[0:1]
	s_cbranch_execz .LBB18_35
; %bb.32:                               ;   in Loop: Header=BB18_17 Depth=3
	v_add_u32_e32 v8, s45, v0
	v_cmp_gt_i32_e32 vcc, s33, v8
	v_mov_b32_e32 v8, 0
	s_and_saveexec_b64 s[36:37], vcc
	s_cbranch_execz .LBB18_34
; %bb.33:                               ;   in Loop: Header=BB18_17 Depth=3
	v_add_u32_e32 v8, s45, v19
	v_ashrrev_i32_e32 v9, 31, v8
	v_add_co_u32_e32 v8, vcc, v2, v8
	v_addc_co_u32_e32 v9, vcc, v3, v9, vcc
	global_load_sbyte v8, v[8:9], off
	s_waitcnt vmcnt(0)
	v_cvt_f32_i32_e32 v8, v8
.LBB18_34:                              ;   in Loop: Header=BB18_17 Depth=3
	s_or_b64 exec, exec, s[36:37]
.LBB18_35:                              ;   in Loop: Header=BB18_17 Depth=3
	s_or_b64 exec, exec, s[34:35]
	s_and_b64 vcc, exec, s[6:7]
	ds_write_b32 v16, v8
	s_cbranch_vccnz .LBB18_20
.LBB18_36:                              ;   in Loop: Header=BB18_17 Depth=3
	s_mov_b64 s[34:35], 0
                                        ; implicit-def: $vgpr8
	s_cbranch_execz .LBB18_25
.LBB18_37:                              ;   in Loop: Header=BB18_17 Depth=3
                                        ; implicit-def: $vgpr8
	s_and_saveexec_b64 s[36:37], s[4:5]
	s_cbranch_execz .LBB18_41
; %bb.38:                               ;   in Loop: Header=BB18_17 Depth=3
	v_add_u32_e32 v8, s45, v1
	v_cmp_gt_i32_e32 vcc, s33, v8
	s_mov_b64 s[38:39], s[34:35]
                                        ; implicit-def: $vgpr8
	s_and_saveexec_b64 s[40:41], vcc
; %bb.39:                               ;   in Loop: Header=BB18_17 Depth=3
	v_add_u32_e32 v8, s45, v18
	s_or_b64 s[38:39], s[34:35], exec
; %bb.40:                               ;   in Loop: Header=BB18_17 Depth=3
	s_or_b64 exec, exec, s[40:41]
	s_andn2_b64 s[34:35], s[34:35], exec
	s_and_b64 s[38:39], s[38:39], exec
	s_or_b64 s[34:35], s[34:35], s[38:39]
.LBB18_41:                              ;   in Loop: Header=BB18_17 Depth=3
	s_or_b64 exec, exec, s[36:37]
	v_mov_b32_e32 v9, 0
	s_and_saveexec_b64 s[36:37], s[34:35]
	s_cbranch_execz .LBB18_16
.LBB18_42:                              ;   in Loop: Header=BB18_17 Depth=3
	v_ashrrev_i32_e32 v9, 31, v8
	v_mov_b32_e32 v20, s19
	v_add_co_u32_e32 v8, vcc, s18, v8
	v_addc_co_u32_e32 v9, vcc, v20, v9, vcc
	global_load_sbyte v8, v[8:9], off
	s_waitcnt vmcnt(0)
	v_cvt_f32_i32_e32 v9, v8
	s_branch .LBB18_16
.LBB18_43:                              ;   in Loop: Header=BB18_12 Depth=1
	v_cmp_gt_i32_e32 vcc, s33, v7
	s_and_b64 s[12:13], s[20:21], vcc
	s_and_saveexec_b64 s[4:5], s[12:13]
	s_cbranch_execz .LBB18_11
; %bb.44:                               ;   in Loop: Header=BB18_12 Depth=1
	v_add_u32_e32 v7, s42, v7
	s_and_b64 vcc, exec, s[24:25]
	v_ashrrev_i32_e32 v8, 31, v7
	s_mov_b64 s[12:13], -1
	s_cbranch_vccz .LBB18_50
; %bb.45:                               ;   in Loop: Header=BB18_12 Depth=1
	s_and_b64 vcc, exec, s[26:27]
	s_cbranch_vccz .LBB18_47
; %bb.46:                               ;   in Loop: Header=BB18_12 Depth=1
	v_mul_lo_u32 v9, s15, v7
	v_mul_lo_u32 v20, s14, v8
	v_mad_u64_u32 v[18:19], s[12:13], s14, v7, 0
	s_mov_b64 s[12:13], 0
	v_add3_u32 v19, v19, v20, v9
	v_lshlrev_b64 v[18:19], 2, v[18:19]
	v_mul_f32_e32 v20, s10, v17
	v_add_co_u32_e32 v18, vcc, v12, v18
	v_addc_co_u32_e32 v19, vcc, v13, v19, vcc
	global_load_dword v9, v[18:19], off
	s_waitcnt vmcnt(0)
	v_fmac_f32_e32 v20, s28, v9
	global_store_dword v[18:19], v20, off
.LBB18_47:                              ;   in Loop: Header=BB18_12 Depth=1
	s_andn2_b64 vcc, exec, s[12:13]
	s_cbranch_vccnz .LBB18_49
; %bb.48:                               ;   in Loop: Header=BB18_12 Depth=1
	v_lshlrev_b64 v[18:19], 2, v[7:8]
	v_mul_f32_e32 v20, s10, v17
	v_add_co_u32_e32 v18, vcc, v14, v18
	v_addc_co_u32_e32 v19, vcc, v15, v19, vcc
	global_load_dword v9, v[18:19], off
	s_waitcnt vmcnt(0)
	v_fmac_f32_e32 v20, s28, v9
	global_store_dword v[18:19], v20, off
.LBB18_49:                              ;   in Loop: Header=BB18_12 Depth=1
	s_mov_b64 s[12:13], 0
.LBB18_50:                              ;   in Loop: Header=BB18_12 Depth=1
	s_andn2_b64 vcc, exec, s[12:13]
	s_cbranch_vccnz .LBB18_11
; %bb.51:                               ;   in Loop: Header=BB18_12 Depth=1
	v_mul_f32_e32 v9, s10, v17
	s_mov_b64 s[12:13], -1
	s_and_b64 vcc, exec, s[26:27]
	s_cbranch_vccz .LBB18_53
; %bb.52:                               ;   in Loop: Header=BB18_12 Depth=1
	v_mul_lo_u32 v19, s15, v7
	v_mul_lo_u32 v20, s14, v8
	v_mad_u64_u32 v[17:18], s[12:13], s14, v7, 0
	s_mov_b64 s[12:13], 0
	v_add3_u32 v18, v18, v20, v19
	v_lshlrev_b64 v[17:18], 2, v[17:18]
	v_add_co_u32_e32 v17, vcc, v12, v17
	v_addc_co_u32_e32 v18, vcc, v13, v18, vcc
	global_store_dword v[17:18], v9, off
.LBB18_53:                              ;   in Loop: Header=BB18_12 Depth=1
	s_andn2_b64 vcc, exec, s[12:13]
	s_cbranch_vccnz .LBB18_11
; %bb.54:                               ;   in Loop: Header=BB18_12 Depth=1
	v_lshlrev_b64 v[7:8], 2, v[7:8]
	v_add_co_u32_e32 v7, vcc, v14, v7
	v_addc_co_u32_e32 v8, vcc, v15, v8, vcc
	global_store_dword v[7:8], v9, off
	s_branch .LBB18_11
.LBB18_55:
	s_endpgm
	.section	.rodata,"a",@progbits
	.p2align	6, 0x0
	.amdhsa_kernel _ZN9rocsparseL29bsrmm_general_blockdim_kernelILj32ELj32EiiaaffEEvb20rocsparse_direction_T2_S2_llNS_24const_host_device_scalarIT6_EEPKT1_PKS2_PKT3_S2_PKT4_llS5_PT5_ll16rocsparse_order_21rocsparse_index_base_b
		.amdhsa_group_segment_fixed_size 8192
		.amdhsa_private_segment_fixed_size 0
		.amdhsa_kernarg_size 140
		.amdhsa_user_sgpr_count 6
		.amdhsa_user_sgpr_private_segment_buffer 1
		.amdhsa_user_sgpr_dispatch_ptr 0
		.amdhsa_user_sgpr_queue_ptr 0
		.amdhsa_user_sgpr_kernarg_segment_ptr 1
		.amdhsa_user_sgpr_dispatch_id 0
		.amdhsa_user_sgpr_flat_scratch_init 0
		.amdhsa_user_sgpr_private_segment_size 0
		.amdhsa_uses_dynamic_stack 0
		.amdhsa_system_sgpr_private_segment_wavefront_offset 0
		.amdhsa_system_sgpr_workgroup_id_x 1
		.amdhsa_system_sgpr_workgroup_id_y 1
		.amdhsa_system_sgpr_workgroup_id_z 0
		.amdhsa_system_sgpr_workgroup_info 0
		.amdhsa_system_vgpr_workitem_id 1
		.amdhsa_next_free_vgpr 40
		.amdhsa_next_free_sgpr 61
		.amdhsa_reserve_vcc 1
		.amdhsa_reserve_flat_scratch 0
		.amdhsa_float_round_mode_32 0
		.amdhsa_float_round_mode_16_64 0
		.amdhsa_float_denorm_mode_32 3
		.amdhsa_float_denorm_mode_16_64 3
		.amdhsa_dx10_clamp 1
		.amdhsa_ieee_mode 1
		.amdhsa_fp16_overflow 0
		.amdhsa_exception_fp_ieee_invalid_op 0
		.amdhsa_exception_fp_denorm_src 0
		.amdhsa_exception_fp_ieee_div_zero 0
		.amdhsa_exception_fp_ieee_overflow 0
		.amdhsa_exception_fp_ieee_underflow 0
		.amdhsa_exception_fp_ieee_inexact 0
		.amdhsa_exception_int_div_zero 0
	.end_amdhsa_kernel
	.section	.text._ZN9rocsparseL29bsrmm_general_blockdim_kernelILj32ELj32EiiaaffEEvb20rocsparse_direction_T2_S2_llNS_24const_host_device_scalarIT6_EEPKT1_PKS2_PKT3_S2_PKT4_llS5_PT5_ll16rocsparse_order_21rocsparse_index_base_b,"axG",@progbits,_ZN9rocsparseL29bsrmm_general_blockdim_kernelILj32ELj32EiiaaffEEvb20rocsparse_direction_T2_S2_llNS_24const_host_device_scalarIT6_EEPKT1_PKS2_PKT3_S2_PKT4_llS5_PT5_ll16rocsparse_order_21rocsparse_index_base_b,comdat
.Lfunc_end18:
	.size	_ZN9rocsparseL29bsrmm_general_blockdim_kernelILj32ELj32EiiaaffEEvb20rocsparse_direction_T2_S2_llNS_24const_host_device_scalarIT6_EEPKT1_PKS2_PKT3_S2_PKT4_llS5_PT5_ll16rocsparse_order_21rocsparse_index_base_b, .Lfunc_end18-_ZN9rocsparseL29bsrmm_general_blockdim_kernelILj32ELj32EiiaaffEEvb20rocsparse_direction_T2_S2_llNS_24const_host_device_scalarIT6_EEPKT1_PKS2_PKT3_S2_PKT4_llS5_PT5_ll16rocsparse_order_21rocsparse_index_base_b
                                        ; -- End function
	.set _ZN9rocsparseL29bsrmm_general_blockdim_kernelILj32ELj32EiiaaffEEvb20rocsparse_direction_T2_S2_llNS_24const_host_device_scalarIT6_EEPKT1_PKS2_PKT3_S2_PKT4_llS5_PT5_ll16rocsparse_order_21rocsparse_index_base_b.num_vgpr, 40
	.set _ZN9rocsparseL29bsrmm_general_blockdim_kernelILj32ELj32EiiaaffEEvb20rocsparse_direction_T2_S2_llNS_24const_host_device_scalarIT6_EEPKT1_PKS2_PKT3_S2_PKT4_llS5_PT5_ll16rocsparse_order_21rocsparse_index_base_b.num_agpr, 0
	.set _ZN9rocsparseL29bsrmm_general_blockdim_kernelILj32ELj32EiiaaffEEvb20rocsparse_direction_T2_S2_llNS_24const_host_device_scalarIT6_EEPKT1_PKS2_PKT3_S2_PKT4_llS5_PT5_ll16rocsparse_order_21rocsparse_index_base_b.numbered_sgpr, 48
	.set _ZN9rocsparseL29bsrmm_general_blockdim_kernelILj32ELj32EiiaaffEEvb20rocsparse_direction_T2_S2_llNS_24const_host_device_scalarIT6_EEPKT1_PKS2_PKT3_S2_PKT4_llS5_PT5_ll16rocsparse_order_21rocsparse_index_base_b.num_named_barrier, 0
	.set _ZN9rocsparseL29bsrmm_general_blockdim_kernelILj32ELj32EiiaaffEEvb20rocsparse_direction_T2_S2_llNS_24const_host_device_scalarIT6_EEPKT1_PKS2_PKT3_S2_PKT4_llS5_PT5_ll16rocsparse_order_21rocsparse_index_base_b.private_seg_size, 0
	.set _ZN9rocsparseL29bsrmm_general_blockdim_kernelILj32ELj32EiiaaffEEvb20rocsparse_direction_T2_S2_llNS_24const_host_device_scalarIT6_EEPKT1_PKS2_PKT3_S2_PKT4_llS5_PT5_ll16rocsparse_order_21rocsparse_index_base_b.uses_vcc, 1
	.set _ZN9rocsparseL29bsrmm_general_blockdim_kernelILj32ELj32EiiaaffEEvb20rocsparse_direction_T2_S2_llNS_24const_host_device_scalarIT6_EEPKT1_PKS2_PKT3_S2_PKT4_llS5_PT5_ll16rocsparse_order_21rocsparse_index_base_b.uses_flat_scratch, 0
	.set _ZN9rocsparseL29bsrmm_general_blockdim_kernelILj32ELj32EiiaaffEEvb20rocsparse_direction_T2_S2_llNS_24const_host_device_scalarIT6_EEPKT1_PKS2_PKT3_S2_PKT4_llS5_PT5_ll16rocsparse_order_21rocsparse_index_base_b.has_dyn_sized_stack, 0
	.set _ZN9rocsparseL29bsrmm_general_blockdim_kernelILj32ELj32EiiaaffEEvb20rocsparse_direction_T2_S2_llNS_24const_host_device_scalarIT6_EEPKT1_PKS2_PKT3_S2_PKT4_llS5_PT5_ll16rocsparse_order_21rocsparse_index_base_b.has_recursion, 0
	.set _ZN9rocsparseL29bsrmm_general_blockdim_kernelILj32ELj32EiiaaffEEvb20rocsparse_direction_T2_S2_llNS_24const_host_device_scalarIT6_EEPKT1_PKS2_PKT3_S2_PKT4_llS5_PT5_ll16rocsparse_order_21rocsparse_index_base_b.has_indirect_call, 0
	.section	.AMDGPU.csdata,"",@progbits
; Kernel info:
; codeLenInByte = 1876
; TotalNumSgprs: 52
; NumVgprs: 40
; ScratchSize: 0
; MemoryBound: 0
; FloatMode: 240
; IeeeMode: 1
; LDSByteSize: 8192 bytes/workgroup (compile time only)
; SGPRBlocks: 8
; VGPRBlocks: 9
; NumSGPRsForWavesPerEU: 65
; NumVGPRsForWavesPerEU: 40
; Occupancy: 6
; WaveLimiterHint : 1
; COMPUTE_PGM_RSRC2:SCRATCH_EN: 0
; COMPUTE_PGM_RSRC2:USER_SGPR: 6
; COMPUTE_PGM_RSRC2:TRAP_HANDLER: 0
; COMPUTE_PGM_RSRC2:TGID_X_EN: 1
; COMPUTE_PGM_RSRC2:TGID_Y_EN: 1
; COMPUTE_PGM_RSRC2:TGID_Z_EN: 0
; COMPUTE_PGM_RSRC2:TIDIG_COMP_CNT: 1
	.section	.text._ZN9rocsparseL29bsrmm_general_blockdim_kernelILj32ELj32EliaaffEEvb20rocsparse_direction_T2_S2_llNS_24const_host_device_scalarIT6_EEPKT1_PKS2_PKT3_S2_PKT4_llS5_PT5_ll16rocsparse_order_21rocsparse_index_base_b,"axG",@progbits,_ZN9rocsparseL29bsrmm_general_blockdim_kernelILj32ELj32EliaaffEEvb20rocsparse_direction_T2_S2_llNS_24const_host_device_scalarIT6_EEPKT1_PKS2_PKT3_S2_PKT4_llS5_PT5_ll16rocsparse_order_21rocsparse_index_base_b,comdat
	.globl	_ZN9rocsparseL29bsrmm_general_blockdim_kernelILj32ELj32EliaaffEEvb20rocsparse_direction_T2_S2_llNS_24const_host_device_scalarIT6_EEPKT1_PKS2_PKT3_S2_PKT4_llS5_PT5_ll16rocsparse_order_21rocsparse_index_base_b ; -- Begin function _ZN9rocsparseL29bsrmm_general_blockdim_kernelILj32ELj32EliaaffEEvb20rocsparse_direction_T2_S2_llNS_24const_host_device_scalarIT6_EEPKT1_PKS2_PKT3_S2_PKT4_llS5_PT5_ll16rocsparse_order_21rocsparse_index_base_b
	.p2align	8
	.type	_ZN9rocsparseL29bsrmm_general_blockdim_kernelILj32ELj32EliaaffEEvb20rocsparse_direction_T2_S2_llNS_24const_host_device_scalarIT6_EEPKT1_PKS2_PKT3_S2_PKT4_llS5_PT5_ll16rocsparse_order_21rocsparse_index_base_b,@function
_ZN9rocsparseL29bsrmm_general_blockdim_kernelILj32ELj32EliaaffEEvb20rocsparse_direction_T2_S2_llNS_24const_host_device_scalarIT6_EEPKT1_PKS2_PKT3_S2_PKT4_llS5_PT5_ll16rocsparse_order_21rocsparse_index_base_b: ; @_ZN9rocsparseL29bsrmm_general_blockdim_kernelILj32ELj32EliaaffEEvb20rocsparse_direction_T2_S2_llNS_24const_host_device_scalarIT6_EEPKT1_PKS2_PKT3_S2_PKT4_llS5_PT5_ll16rocsparse_order_21rocsparse_index_base_b
; %bb.0:
	s_load_dwordx4 s[8:11], s[4:5], 0x80
	s_mov_b32 s0, s7
	s_waitcnt lgkmcnt(0)
	s_bitcmp1_b32 s10, 0
	s_load_dwordx2 s[10:11], s[4:5], 0x20
	s_load_dwordx2 s[28:29], s[4:5], 0x60
	s_cselect_b64 s[12:13], -1, 0
	s_xor_b64 s[2:3], s[12:13], -1
	s_and_b64 vcc, exec, s[12:13]
	s_cbranch_vccnz .LBB19_2
; %bb.1:
	s_waitcnt lgkmcnt(0)
	s_load_dword s10, s[10:11], 0x0
.LBB19_2:
	s_andn2_b64 vcc, exec, s[2:3]
	s_cbranch_vccnz .LBB19_4
; %bb.3:
	s_waitcnt lgkmcnt(0)
	s_load_dword s28, s[28:29], 0x0
.LBB19_4:
	s_waitcnt lgkmcnt(0)
	v_cmp_eq_f32_e64 s[2:3], s10, 0
	v_cmp_eq_f32_e64 s[12:13], s28, 1.0
	s_and_b64 s[2:3], s[2:3], s[12:13]
	s_and_b64 vcc, exec, s[2:3]
	s_cbranch_vccnz .LBB19_51
; %bb.5:
	s_load_dwordx4 s[24:27], s[4:5], 0x0
	s_load_dwordx2 s[12:13], s[4:5], 0x28
	s_mov_b64 s[30:31], 0
	s_mov_b64 s[34:35], 0
	s_waitcnt lgkmcnt(0)
	s_cmp_lt_i32 s6, s26
	s_cselect_b64 s[2:3], -1, 0
	s_cmp_ge_i32 s6, s26
	s_cbranch_scc0 .LBB19_8
; %bb.6:
	s_andn2_b64 vcc, exec, s[2:3]
	s_cbranch_vccz .LBB19_9
.LBB19_7:
	s_load_dword s11, s[4:5], 0x40
	s_waitcnt lgkmcnt(0)
	s_cmp_lt_i32 s11, 1
	s_cbranch_scc0 .LBB19_10
	s_branch .LBB19_51
.LBB19_8:
	s_ashr_i32 s7, s6, 31
	s_lshl_b64 s[14:15], s[6:7], 3
	s_add_u32 s14, s12, s14
	s_addc_u32 s15, s13, s15
	s_load_dwordx2 s[14:15], s[14:15], 0x0
	s_waitcnt lgkmcnt(0)
	s_sub_u32 s34, s14, s9
	s_subb_u32 s35, s15, 0
	s_andn2_b64 vcc, exec, s[2:3]
	s_cbranch_vccnz .LBB19_7
.LBB19_9:
	s_ashr_i32 s7, s6, 31
	s_lshl_b64 s[14:15], s[6:7], 3
	s_add_u32 s12, s12, s14
	s_addc_u32 s13, s13, s15
	s_load_dwordx2 s[12:13], s[12:13], 0x8
	s_waitcnt lgkmcnt(0)
	s_sub_u32 s30, s12, s9
	s_subb_u32 s31, s13, 0
	s_load_dword s11, s[4:5], 0x40
	s_waitcnt lgkmcnt(0)
	s_cmp_lt_i32 s11, 1
	s_cbranch_scc1 .LBB19_51
.LBB19_10:
	s_load_dwordx4 s[12:15], s[4:5], 0x68
	s_load_dwordx4 s[16:19], s[4:5], 0x30
	;; [unrolled: 1-line block ×3, first 2 shown]
	s_bitcmp1_b32 s24, 0
	v_lshl_add_u32 v6, s0, 5, v1
	s_cselect_b64 s[4:5], -1, 0
	v_ashrrev_i32_e32 v7, 31, v6
	s_waitcnt lgkmcnt(0)
	v_mov_b32_e32 v2, s20
	v_mov_b32_e32 v3, s21
	s_xor_b64 s[36:37], s[4:5], -1
	v_mul_lo_u32 v10, s22, v7
	v_mul_lo_u32 v11, s23, v6
	v_mad_u64_u32 v[2:3], s[4:5], s22, v6, v[2:3]
	v_cmp_gt_i32_e64 s[0:1], s27, v6
	v_mov_b32_e32 v5, s21
	v_add_co_u32_e32 v4, vcc, s20, v6
	s_cmp_lg_u32 s25, 0
	s_mul_i32 s29, s11, s6
	v_addc_co_u32_e32 v5, vcc, v5, v7, vcc
	v_add3_u32 v3, v11, v3, v10
	s_cselect_b64 s[6:7], -1, 0
	s_and_b64 s[20:21], s[2:3], s[0:1]
	v_lshlrev_b64 v[10:11], 2, v[6:7]
	v_mul_lo_u32 v13, s14, v7
	v_mul_lo_u32 v17, s15, v6
	v_mad_u64_u32 v[6:7], s[2:3], s14, v6, 0
	v_mov_b32_e32 v12, s13
	v_add_co_u32_e32 v10, vcc, s12, v10
	v_add3_u32 v7, v7, v13, v17
	v_lshlrev_b64 v[6:7], 2, v[6:7]
	v_addc_co_u32_e32 v11, vcc, v12, v11, vcc
	v_mov_b32_e32 v14, s30
	v_mov_b32_e32 v13, s13
	v_add_co_u32_e32 v12, vcc, s12, v6
	v_mov_b32_e32 v15, s31
	v_addc_co_u32_e32 v13, vcc, v13, v7, vcc
	v_cmp_lt_i64_e32 vcc, s[34:35], v[14:15]
	v_lshlrev_b32_e32 v8, 2, v0
	v_or_b32_e32 v16, 0x1000, v8
	v_lshlrev_b32_e32 v9, 7, v1
	s_cmp_lg_u32 s8, 1
	v_cndmask_b32_e64 v6, 0, 1, vcc
	s_mov_b32 s33, 0
	s_mul_i32 s46, s11, s11
	v_cmp_neq_f32_e64 s[24:25], s28, 0
	s_cselect_b64 s[26:27], -1, 0
	v_cmp_ne_u32_e64 s[2:3], 1, v6
	v_add_u32_e32 v14, v16, v9
	v_add_u32_e32 v15, 0x400, v8
	;; [unrolled: 1-line block ×4, first 2 shown]
	s_branch .LBB19_12
.LBB19_11:                              ;   in Loop: Header=BB19_12 Depth=1
	s_or_b64 exec, exec, s[4:5]
	s_add_i32 s33, s33, 32
	s_cmp_lt_i32 s33, s11
	s_cbranch_scc0 .LBB19_51
.LBB19_12:                              ; =>This Loop Header: Depth=1
                                        ;     Child Loop BB19_15 Depth 2
                                        ;       Child Loop BB19_17 Depth 3
	v_add_u32_e32 v6, s33, v0
	v_mov_b32_e32 v18, 0
	s_and_b64 vcc, exec, s[2:3]
	v_cmp_gt_i32_e64 s[4:5], s11, v6
	s_cbranch_vccnz .LBB19_39
; %bb.13:                               ;   in Loop: Header=BB19_12 Depth=1
	v_mul_lo_u32 v7, v6, s11
	v_mov_b32_e32 v18, 0
	s_mov_b64 s[12:13], s[34:35]
	s_branch .LBB19_15
.LBB19_14:                              ;   in Loop: Header=BB19_15 Depth=2
	s_add_u32 s12, s12, 1
	v_mov_b32_e32 v19, s30
	s_addc_u32 s13, s13, 0
	v_mov_b32_e32 v20, s31
	v_cmp_ge_i64_e32 vcc, s[12:13], v[19:20]
	s_cbranch_vccnz .LBB19_39
.LBB19_15:                              ;   Parent Loop BB19_12 Depth=1
                                        ; =>  This Loop Header: Depth=2
                                        ;       Child Loop BB19_17 Depth 3
	s_lshl_b64 s[38:39], s[12:13], 2
	s_add_u32 s38, s16, s38
	s_addc_u32 s39, s17, s39
	s_load_dword s8, s[38:39], 0x0
	s_mul_i32 s38, s13, s46
	s_mul_hi_u32 s39, s12, s46
	s_mul_i32 s40, s12, s46
	s_add_i32 s39, s39, s38
	s_waitcnt lgkmcnt(0)
	s_sub_i32 s8, s8, s9
	s_mul_i32 s38, s8, s11
	s_add_u32 s8, s18, s40
	s_addc_u32 s47, s19, s39
	v_add_u32_e32 v19, s38, v0
	s_mov_b32 s48, 0
	s_branch .LBB19_17
.LBB19_16:                              ;   in Loop: Header=BB19_17 Depth=3
	s_or_b64 exec, exec, s[38:39]
	v_add_u32_e32 v20, v8, v9
	ds_write_b32 v20, v22
	s_waitcnt vmcnt(0) lgkmcnt(0)
	s_barrier
	ds_read2_b32 v[28:29], v8 offset1:32
	ds_read_b128 v[20:23], v9 offset:4096
	ds_read2_b32 v[30:31], v8 offset0:64 offset1:96
	ds_read_b128 v[24:27], v9 offset:4112
	ds_read2_b32 v[32:33], v8 offset0:128 offset1:160
	s_add_i32 s48, s48, 32
	s_waitcnt lgkmcnt(3)
	v_fmac_f32_e32 v18, v28, v20
	v_fmac_f32_e32 v18, v29, v21
	s_waitcnt lgkmcnt(2)
	v_fmac_f32_e32 v18, v30, v22
	v_fmac_f32_e32 v18, v31, v23
	ds_read2_b32 v[34:35], v8 offset0:192 offset1:224
	ds_read_b128 v[20:23], v9 offset:4128
	ds_read_b128 v[28:31], v9 offset:4144
	ds_read2_b32 v[36:37], v15 offset1:32
	s_waitcnt lgkmcnt(4)
	v_fmac_f32_e32 v18, v32, v24
	v_fmac_f32_e32 v18, v33, v25
	ds_read2_b32 v[24:25], v15 offset0:64 offset1:96
	s_waitcnt lgkmcnt(4)
	v_fmac_f32_e32 v18, v34, v26
	v_fmac_f32_e32 v18, v35, v27
	s_waitcnt lgkmcnt(1)
	v_fmac_f32_e32 v18, v36, v20
	ds_read2_b32 v[26:27], v15 offset0:128 offset1:160
	v_fmac_f32_e32 v18, v37, v21
	s_waitcnt lgkmcnt(1)
	v_fmac_f32_e32 v18, v24, v22
	v_fmac_f32_e32 v18, v25, v23
	ds_read2_b32 v[24:25], v15 offset0:192 offset1:224
	s_waitcnt lgkmcnt(1)
	v_fmac_f32_e32 v18, v26, v28
	v_fmac_f32_e32 v18, v27, v29
	ds_read2_b32 v[28:29], v16 offset1:32
	ds_read_b128 v[20:23], v9 offset:4160
	s_cmp_ge_i32 s48, s11
	s_waitcnt lgkmcnt(2)
	v_fmac_f32_e32 v18, v24, v30
	v_fmac_f32_e32 v18, v25, v31
	ds_read2_b32 v[30:31], v16 offset0:64 offset1:96
	ds_read_b128 v[24:27], v9 offset:4176
	ds_read2_b32 v[32:33], v16 offset0:128 offset1:160
	s_waitcnt lgkmcnt(3)
	v_fmac_f32_e32 v18, v28, v20
	v_fmac_f32_e32 v18, v29, v21
	ds_read2_b32 v[28:29], v16 offset0:192 offset1:224
	s_waitcnt lgkmcnt(3)
	v_fmac_f32_e32 v18, v30, v22
	v_fmac_f32_e32 v18, v31, v23
	s_waitcnt lgkmcnt(1)
	v_fmac_f32_e32 v18, v32, v24
	ds_read2_b32 v[30:31], v17 offset1:32
	ds_read_b128 v[20:23], v9 offset:4192
	v_fmac_f32_e32 v18, v33, v25
	s_waitcnt lgkmcnt(2)
	v_fmac_f32_e32 v18, v28, v26
	v_fmac_f32_e32 v18, v29, v27
	ds_read2_b32 v[28:29], v17 offset0:64 offset1:96
	ds_read_b128 v[24:27], v9 offset:4208
	ds_read2_b32 v[32:33], v17 offset0:128 offset1:160
	s_waitcnt lgkmcnt(3)
	v_fmac_f32_e32 v18, v30, v20
	v_fmac_f32_e32 v18, v31, v21
	ds_read2_b32 v[20:21], v17 offset0:192 offset1:224
	s_waitcnt lgkmcnt(3)
	v_fmac_f32_e32 v18, v28, v22
	v_fmac_f32_e32 v18, v29, v23
	s_waitcnt lgkmcnt(1)
	v_fmac_f32_e32 v18, v32, v24
	v_fmac_f32_e32 v18, v33, v25
	;; [unrolled: 3-line block ×3, first 2 shown]
	s_barrier
	s_cbranch_scc1 .LBB19_14
.LBB19_17:                              ;   Parent Loop BB19_12 Depth=1
                                        ;     Parent Loop BB19_15 Depth=2
                                        ; =>    This Inner Loop Header: Depth=3
	s_mov_b64 s[38:39], -1
	s_and_b64 vcc, exec, s[36:37]
                                        ; implicit-def: $vgpr20
	s_cbranch_vccnz .LBB19_26
; %bb.18:                               ;   in Loop: Header=BB19_17 Depth=3
	s_andn2_b64 vcc, exec, s[38:39]
	s_cbranch_vccz .LBB19_31
.LBB19_19:                              ;   in Loop: Header=BB19_17 Depth=3
	s_and_b64 vcc, exec, s[6:7]
	ds_write_b32 v14, v20
	s_cbranch_vccz .LBB19_36
.LBB19_20:                              ;   in Loop: Header=BB19_17 Depth=3
	s_mov_b64 s[38:39], 0
	s_mov_b64 s[40:41], 0
                                        ; implicit-def: $vgpr20
	s_and_saveexec_b64 s[42:43], s[4:5]
	s_cbranch_execz .LBB19_24
; %bb.21:                               ;   in Loop: Header=BB19_17 Depth=3
	v_add_u32_e32 v21, s48, v1
	v_cmp_gt_i32_e32 vcc, s11, v21
                                        ; implicit-def: $vgpr20
	s_and_saveexec_b64 s[44:45], vcc
	s_xor_b64 s[44:45], exec, s[44:45]
; %bb.22:                               ;   in Loop: Header=BB19_17 Depth=3
	s_mov_b64 s[40:41], exec
	v_mul_lo_u32 v20, v21, s11
; %bb.23:                               ;   in Loop: Header=BB19_17 Depth=3
	s_or_b64 exec, exec, s[44:45]
	s_and_b64 s[40:41], s[40:41], exec
.LBB19_24:                              ;   in Loop: Header=BB19_17 Depth=3
	s_or_b64 exec, exec, s[42:43]
	s_and_b64 vcc, exec, s[38:39]
	s_cbranch_vccz .LBB19_37
.LBB19_25:                              ;   in Loop: Header=BB19_17 Depth=3
	v_add_u32_e32 v20, s48, v1
	v_cmp_gt_i32_e32 vcc, s11, v20
	s_and_b64 s[38:39], s[4:5], vcc
	s_andn2_b64 s[40:41], s[40:41], exec
	s_and_b64 s[38:39], s[38:39], exec
	s_or_b64 s[40:41], s[40:41], s[38:39]
	v_mov_b32_e32 v21, v7
	v_mov_b32_e32 v22, 0
	s_and_saveexec_b64 s[38:39], s[40:41]
	s_cbranch_execz .LBB19_16
	s_branch .LBB19_38
.LBB19_26:                              ;   in Loop: Header=BB19_17 Depth=3
	v_mov_b32_e32 v20, 0
	s_and_saveexec_b64 s[38:39], s[0:1]
	s_cbranch_execz .LBB19_30
; %bb.27:                               ;   in Loop: Header=BB19_17 Depth=3
	v_add_u32_e32 v20, s48, v0
	v_cmp_gt_i32_e32 vcc, s11, v20
	v_mov_b32_e32 v20, 0
	s_and_saveexec_b64 s[40:41], vcc
	s_cbranch_execz .LBB19_29
; %bb.28:                               ;   in Loop: Header=BB19_17 Depth=3
	v_add_u32_e32 v20, s48, v19
	v_ashrrev_i32_e32 v21, 31, v20
	v_mul_lo_u32 v22, s22, v21
	v_mul_lo_u32 v23, s23, v20
	v_mad_u64_u32 v[20:21], s[42:43], s22, v20, v[4:5]
	v_add3_u32 v21, v23, v21, v22
	global_load_sbyte v20, v[20:21], off
	s_waitcnt vmcnt(0)
	v_cvt_f32_i32_e32 v20, v20
.LBB19_29:                              ;   in Loop: Header=BB19_17 Depth=3
	s_or_b64 exec, exec, s[40:41]
.LBB19_30:                              ;   in Loop: Header=BB19_17 Depth=3
	s_or_b64 exec, exec, s[38:39]
	s_cbranch_execnz .LBB19_19
.LBB19_31:                              ;   in Loop: Header=BB19_17 Depth=3
	v_mov_b32_e32 v20, 0
	s_and_saveexec_b64 s[38:39], s[0:1]
	s_cbranch_execz .LBB19_35
; %bb.32:                               ;   in Loop: Header=BB19_17 Depth=3
	v_add_u32_e32 v20, s48, v0
	v_cmp_gt_i32_e32 vcc, s11, v20
	v_mov_b32_e32 v20, 0
	s_and_saveexec_b64 s[40:41], vcc
	s_cbranch_execz .LBB19_34
; %bb.33:                               ;   in Loop: Header=BB19_17 Depth=3
	v_add_u32_e32 v20, s48, v19
	v_ashrrev_i32_e32 v21, 31, v20
	v_add_co_u32_e32 v20, vcc, v2, v20
	v_addc_co_u32_e32 v21, vcc, v3, v21, vcc
	global_load_sbyte v20, v[20:21], off
	s_waitcnt vmcnt(0)
	v_cvt_f32_i32_e32 v20, v20
.LBB19_34:                              ;   in Loop: Header=BB19_17 Depth=3
	s_or_b64 exec, exec, s[40:41]
.LBB19_35:                              ;   in Loop: Header=BB19_17 Depth=3
	s_or_b64 exec, exec, s[38:39]
	s_and_b64 vcc, exec, s[6:7]
	ds_write_b32 v14, v20
	s_cbranch_vccnz .LBB19_20
.LBB19_36:                              ;   in Loop: Header=BB19_17 Depth=3
	s_mov_b64 s[40:41], 0
                                        ; implicit-def: $vgpr20
	s_cbranch_execnz .LBB19_25
.LBB19_37:                              ;   in Loop: Header=BB19_17 Depth=3
	v_mov_b32_e32 v21, v6
	v_mov_b32_e32 v22, 0
	s_and_saveexec_b64 s[38:39], s[40:41]
	s_cbranch_execz .LBB19_16
.LBB19_38:                              ;   in Loop: Header=BB19_17 Depth=3
	v_ashrrev_i32_e32 v22, 31, v21
	v_mov_b32_e32 v23, s47
	v_add_co_u32_e32 v21, vcc, s8, v21
	v_addc_co_u32_e32 v22, vcc, v23, v22, vcc
	v_ashrrev_i32_e32 v23, 31, v20
	v_add_co_u32_e32 v20, vcc, v21, v20
	v_addc_co_u32_e32 v21, vcc, v22, v23, vcc
	global_load_sbyte v20, v[20:21], off
	s_waitcnt vmcnt(0)
	v_cvt_f32_i32_e32 v22, v20
	s_branch .LBB19_16
.LBB19_39:                              ;   in Loop: Header=BB19_12 Depth=1
	v_cmp_gt_i32_e32 vcc, s11, v6
	s_and_b64 s[12:13], s[20:21], vcc
	s_and_saveexec_b64 s[4:5], s[12:13]
	s_cbranch_execz .LBB19_11
; %bb.40:                               ;   in Loop: Header=BB19_12 Depth=1
	v_add_u32_e32 v6, s29, v6
	s_and_b64 vcc, exec, s[24:25]
	v_ashrrev_i32_e32 v7, 31, v6
	s_mov_b64 s[12:13], -1
	s_cbranch_vccz .LBB19_46
; %bb.41:                               ;   in Loop: Header=BB19_12 Depth=1
	s_and_b64 vcc, exec, s[26:27]
	s_cbranch_vccz .LBB19_43
; %bb.42:                               ;   in Loop: Header=BB19_12 Depth=1
	v_mul_lo_u32 v21, s15, v6
	v_mul_lo_u32 v22, s14, v7
	v_mad_u64_u32 v[19:20], s[12:13], s14, v6, 0
	s_mov_b64 s[12:13], 0
	v_add3_u32 v20, v20, v22, v21
	v_lshlrev_b64 v[19:20], 2, v[19:20]
	v_mul_f32_e32 v22, s10, v18
	v_add_co_u32_e32 v19, vcc, v10, v19
	v_addc_co_u32_e32 v20, vcc, v11, v20, vcc
	global_load_dword v21, v[19:20], off
	s_waitcnt vmcnt(0)
	v_fmac_f32_e32 v22, s28, v21
	global_store_dword v[19:20], v22, off
.LBB19_43:                              ;   in Loop: Header=BB19_12 Depth=1
	s_andn2_b64 vcc, exec, s[12:13]
	s_cbranch_vccnz .LBB19_45
; %bb.44:                               ;   in Loop: Header=BB19_12 Depth=1
	v_lshlrev_b64 v[19:20], 2, v[6:7]
	v_mul_f32_e32 v22, s10, v18
	v_add_co_u32_e32 v19, vcc, v12, v19
	v_addc_co_u32_e32 v20, vcc, v13, v20, vcc
	global_load_dword v21, v[19:20], off
	s_waitcnt vmcnt(0)
	v_fmac_f32_e32 v22, s28, v21
	global_store_dword v[19:20], v22, off
.LBB19_45:                              ;   in Loop: Header=BB19_12 Depth=1
	s_mov_b64 s[12:13], 0
.LBB19_46:                              ;   in Loop: Header=BB19_12 Depth=1
	s_andn2_b64 vcc, exec, s[12:13]
	s_cbranch_vccnz .LBB19_11
; %bb.47:                               ;   in Loop: Header=BB19_12 Depth=1
	v_mul_f32_e32 v18, s10, v18
	s_mov_b64 s[12:13], -1
	s_and_b64 vcc, exec, s[26:27]
	s_cbranch_vccz .LBB19_49
; %bb.48:                               ;   in Loop: Header=BB19_12 Depth=1
	v_mul_lo_u32 v21, s15, v6
	v_mul_lo_u32 v22, s14, v7
	v_mad_u64_u32 v[19:20], s[12:13], s14, v6, 0
	s_mov_b64 s[12:13], 0
	v_add3_u32 v20, v20, v22, v21
	v_lshlrev_b64 v[19:20], 2, v[19:20]
	v_add_co_u32_e32 v19, vcc, v10, v19
	v_addc_co_u32_e32 v20, vcc, v11, v20, vcc
	global_store_dword v[19:20], v18, off
.LBB19_49:                              ;   in Loop: Header=BB19_12 Depth=1
	s_andn2_b64 vcc, exec, s[12:13]
	s_cbranch_vccnz .LBB19_11
; %bb.50:                               ;   in Loop: Header=BB19_12 Depth=1
	v_lshlrev_b64 v[6:7], 2, v[6:7]
	v_add_co_u32_e32 v6, vcc, v12, v6
	v_addc_co_u32_e32 v7, vcc, v13, v7, vcc
	global_store_dword v[6:7], v18, off
	s_branch .LBB19_11
.LBB19_51:
	s_endpgm
	.section	.rodata,"a",@progbits
	.p2align	6, 0x0
	.amdhsa_kernel _ZN9rocsparseL29bsrmm_general_blockdim_kernelILj32ELj32EliaaffEEvb20rocsparse_direction_T2_S2_llNS_24const_host_device_scalarIT6_EEPKT1_PKS2_PKT3_S2_PKT4_llS5_PT5_ll16rocsparse_order_21rocsparse_index_base_b
		.amdhsa_group_segment_fixed_size 8192
		.amdhsa_private_segment_fixed_size 0
		.amdhsa_kernarg_size 140
		.amdhsa_user_sgpr_count 6
		.amdhsa_user_sgpr_private_segment_buffer 1
		.amdhsa_user_sgpr_dispatch_ptr 0
		.amdhsa_user_sgpr_queue_ptr 0
		.amdhsa_user_sgpr_kernarg_segment_ptr 1
		.amdhsa_user_sgpr_dispatch_id 0
		.amdhsa_user_sgpr_flat_scratch_init 0
		.amdhsa_user_sgpr_private_segment_size 0
		.amdhsa_uses_dynamic_stack 0
		.amdhsa_system_sgpr_private_segment_wavefront_offset 0
		.amdhsa_system_sgpr_workgroup_id_x 1
		.amdhsa_system_sgpr_workgroup_id_y 1
		.amdhsa_system_sgpr_workgroup_id_z 0
		.amdhsa_system_sgpr_workgroup_info 0
		.amdhsa_system_vgpr_workitem_id 1
		.amdhsa_next_free_vgpr 38
		.amdhsa_next_free_sgpr 61
		.amdhsa_reserve_vcc 1
		.amdhsa_reserve_flat_scratch 0
		.amdhsa_float_round_mode_32 0
		.amdhsa_float_round_mode_16_64 0
		.amdhsa_float_denorm_mode_32 3
		.amdhsa_float_denorm_mode_16_64 3
		.amdhsa_dx10_clamp 1
		.amdhsa_ieee_mode 1
		.amdhsa_fp16_overflow 0
		.amdhsa_exception_fp_ieee_invalid_op 0
		.amdhsa_exception_fp_denorm_src 0
		.amdhsa_exception_fp_ieee_div_zero 0
		.amdhsa_exception_fp_ieee_overflow 0
		.amdhsa_exception_fp_ieee_underflow 0
		.amdhsa_exception_fp_ieee_inexact 0
		.amdhsa_exception_int_div_zero 0
	.end_amdhsa_kernel
	.section	.text._ZN9rocsparseL29bsrmm_general_blockdim_kernelILj32ELj32EliaaffEEvb20rocsparse_direction_T2_S2_llNS_24const_host_device_scalarIT6_EEPKT1_PKS2_PKT3_S2_PKT4_llS5_PT5_ll16rocsparse_order_21rocsparse_index_base_b,"axG",@progbits,_ZN9rocsparseL29bsrmm_general_blockdim_kernelILj32ELj32EliaaffEEvb20rocsparse_direction_T2_S2_llNS_24const_host_device_scalarIT6_EEPKT1_PKS2_PKT3_S2_PKT4_llS5_PT5_ll16rocsparse_order_21rocsparse_index_base_b,comdat
.Lfunc_end19:
	.size	_ZN9rocsparseL29bsrmm_general_blockdim_kernelILj32ELj32EliaaffEEvb20rocsparse_direction_T2_S2_llNS_24const_host_device_scalarIT6_EEPKT1_PKS2_PKT3_S2_PKT4_llS5_PT5_ll16rocsparse_order_21rocsparse_index_base_b, .Lfunc_end19-_ZN9rocsparseL29bsrmm_general_blockdim_kernelILj32ELj32EliaaffEEvb20rocsparse_direction_T2_S2_llNS_24const_host_device_scalarIT6_EEPKT1_PKS2_PKT3_S2_PKT4_llS5_PT5_ll16rocsparse_order_21rocsparse_index_base_b
                                        ; -- End function
	.set _ZN9rocsparseL29bsrmm_general_blockdim_kernelILj32ELj32EliaaffEEvb20rocsparse_direction_T2_S2_llNS_24const_host_device_scalarIT6_EEPKT1_PKS2_PKT3_S2_PKT4_llS5_PT5_ll16rocsparse_order_21rocsparse_index_base_b.num_vgpr, 38
	.set _ZN9rocsparseL29bsrmm_general_blockdim_kernelILj32ELj32EliaaffEEvb20rocsparse_direction_T2_S2_llNS_24const_host_device_scalarIT6_EEPKT1_PKS2_PKT3_S2_PKT4_llS5_PT5_ll16rocsparse_order_21rocsparse_index_base_b.num_agpr, 0
	.set _ZN9rocsparseL29bsrmm_general_blockdim_kernelILj32ELj32EliaaffEEvb20rocsparse_direction_T2_S2_llNS_24const_host_device_scalarIT6_EEPKT1_PKS2_PKT3_S2_PKT4_llS5_PT5_ll16rocsparse_order_21rocsparse_index_base_b.numbered_sgpr, 49
	.set _ZN9rocsparseL29bsrmm_general_blockdim_kernelILj32ELj32EliaaffEEvb20rocsparse_direction_T2_S2_llNS_24const_host_device_scalarIT6_EEPKT1_PKS2_PKT3_S2_PKT4_llS5_PT5_ll16rocsparse_order_21rocsparse_index_base_b.num_named_barrier, 0
	.set _ZN9rocsparseL29bsrmm_general_blockdim_kernelILj32ELj32EliaaffEEvb20rocsparse_direction_T2_S2_llNS_24const_host_device_scalarIT6_EEPKT1_PKS2_PKT3_S2_PKT4_llS5_PT5_ll16rocsparse_order_21rocsparse_index_base_b.private_seg_size, 0
	.set _ZN9rocsparseL29bsrmm_general_blockdim_kernelILj32ELj32EliaaffEEvb20rocsparse_direction_T2_S2_llNS_24const_host_device_scalarIT6_EEPKT1_PKS2_PKT3_S2_PKT4_llS5_PT5_ll16rocsparse_order_21rocsparse_index_base_b.uses_vcc, 1
	.set _ZN9rocsparseL29bsrmm_general_blockdim_kernelILj32ELj32EliaaffEEvb20rocsparse_direction_T2_S2_llNS_24const_host_device_scalarIT6_EEPKT1_PKS2_PKT3_S2_PKT4_llS5_PT5_ll16rocsparse_order_21rocsparse_index_base_b.uses_flat_scratch, 0
	.set _ZN9rocsparseL29bsrmm_general_blockdim_kernelILj32ELj32EliaaffEEvb20rocsparse_direction_T2_S2_llNS_24const_host_device_scalarIT6_EEPKT1_PKS2_PKT3_S2_PKT4_llS5_PT5_ll16rocsparse_order_21rocsparse_index_base_b.has_dyn_sized_stack, 0
	.set _ZN9rocsparseL29bsrmm_general_blockdim_kernelILj32ELj32EliaaffEEvb20rocsparse_direction_T2_S2_llNS_24const_host_device_scalarIT6_EEPKT1_PKS2_PKT3_S2_PKT4_llS5_PT5_ll16rocsparse_order_21rocsparse_index_base_b.has_recursion, 0
	.set _ZN9rocsparseL29bsrmm_general_blockdim_kernelILj32ELj32EliaaffEEvb20rocsparse_direction_T2_S2_llNS_24const_host_device_scalarIT6_EEPKT1_PKS2_PKT3_S2_PKT4_llS5_PT5_ll16rocsparse_order_21rocsparse_index_base_b.has_indirect_call, 0
	.section	.AMDGPU.csdata,"",@progbits
; Kernel info:
; codeLenInByte = 1876
; TotalNumSgprs: 53
; NumVgprs: 38
; ScratchSize: 0
; MemoryBound: 0
; FloatMode: 240
; IeeeMode: 1
; LDSByteSize: 8192 bytes/workgroup (compile time only)
; SGPRBlocks: 8
; VGPRBlocks: 9
; NumSGPRsForWavesPerEU: 65
; NumVGPRsForWavesPerEU: 38
; Occupancy: 6
; WaveLimiterHint : 1
; COMPUTE_PGM_RSRC2:SCRATCH_EN: 0
; COMPUTE_PGM_RSRC2:USER_SGPR: 6
; COMPUTE_PGM_RSRC2:TRAP_HANDLER: 0
; COMPUTE_PGM_RSRC2:TGID_X_EN: 1
; COMPUTE_PGM_RSRC2:TGID_Y_EN: 1
; COMPUTE_PGM_RSRC2:TGID_Z_EN: 0
; COMPUTE_PGM_RSRC2:TIDIG_COMP_CNT: 1
	.section	.text._ZN9rocsparseL29bsrmm_general_blockdim_kernelILj32ELj32EllaaffEEvb20rocsparse_direction_T2_S2_llNS_24const_host_device_scalarIT6_EEPKT1_PKS2_PKT3_S2_PKT4_llS5_PT5_ll16rocsparse_order_21rocsparse_index_base_b,"axG",@progbits,_ZN9rocsparseL29bsrmm_general_blockdim_kernelILj32ELj32EllaaffEEvb20rocsparse_direction_T2_S2_llNS_24const_host_device_scalarIT6_EEPKT1_PKS2_PKT3_S2_PKT4_llS5_PT5_ll16rocsparse_order_21rocsparse_index_base_b,comdat
	.globl	_ZN9rocsparseL29bsrmm_general_blockdim_kernelILj32ELj32EllaaffEEvb20rocsparse_direction_T2_S2_llNS_24const_host_device_scalarIT6_EEPKT1_PKS2_PKT3_S2_PKT4_llS5_PT5_ll16rocsparse_order_21rocsparse_index_base_b ; -- Begin function _ZN9rocsparseL29bsrmm_general_blockdim_kernelILj32ELj32EllaaffEEvb20rocsparse_direction_T2_S2_llNS_24const_host_device_scalarIT6_EEPKT1_PKS2_PKT3_S2_PKT4_llS5_PT5_ll16rocsparse_order_21rocsparse_index_base_b
	.p2align	8
	.type	_ZN9rocsparseL29bsrmm_general_blockdim_kernelILj32ELj32EllaaffEEvb20rocsparse_direction_T2_S2_llNS_24const_host_device_scalarIT6_EEPKT1_PKS2_PKT3_S2_PKT4_llS5_PT5_ll16rocsparse_order_21rocsparse_index_base_b,@function
_ZN9rocsparseL29bsrmm_general_blockdim_kernelILj32ELj32EllaaffEEvb20rocsparse_direction_T2_S2_llNS_24const_host_device_scalarIT6_EEPKT1_PKS2_PKT3_S2_PKT4_llS5_PT5_ll16rocsparse_order_21rocsparse_index_base_b: ; @_ZN9rocsparseL29bsrmm_general_blockdim_kernelILj32ELj32EllaaffEEvb20rocsparse_direction_T2_S2_llNS_24const_host_device_scalarIT6_EEPKT1_PKS2_PKT3_S2_PKT4_llS5_PT5_ll16rocsparse_order_21rocsparse_index_base_b
; %bb.0:
	s_load_dwordx4 s[20:23], s[4:5], 0x88
	s_mov_b32 s0, s7
	v_mov_b32_e32 v3, v0
	s_waitcnt lgkmcnt(0)
	s_bitcmp1_b32 s22, 0
	s_load_dwordx2 s[22:23], s[4:5], 0x28
	s_load_dwordx2 s[28:29], s[4:5], 0x68
	s_cselect_b64 s[8:9], -1, 0
	s_xor_b64 s[2:3], s[8:9], -1
	s_and_b64 vcc, exec, s[8:9]
	s_cbranch_vccnz .LBB20_2
; %bb.1:
	s_waitcnt lgkmcnt(0)
	s_load_dword s22, s[22:23], 0x0
.LBB20_2:
	s_andn2_b64 vcc, exec, s[2:3]
	s_cbranch_vccnz .LBB20_4
; %bb.3:
	s_waitcnt lgkmcnt(0)
	s_load_dword s28, s[28:29], 0x0
.LBB20_4:
	s_waitcnt lgkmcnt(0)
	v_cmp_eq_f32_e64 s[2:3], s22, 0
	v_cmp_eq_f32_e64 s[8:9], s28, 1.0
	s_and_b64 s[2:3], s[2:3], s[8:9]
	s_and_b64 vcc, exec, s[2:3]
	s_cbranch_vccnz .LBB20_53
; %bb.5:
	s_load_dwordx4 s[24:27], s[4:5], 0x8
	s_load_dwordx2 s[8:9], s[4:5], 0x30
	s_ashr_i32 s7, s6, 31
	v_mov_b32_e32 v4, s6
	v_mov_b32_e32 v5, s7
	s_waitcnt lgkmcnt(0)
	v_cmp_le_i64_e32 vcc, s[24:25], v[4:5]
	v_cmp_gt_i64_e64 s[2:3], s[24:25], v[4:5]
	s_mov_b64 s[30:31], 0
	s_mov_b64 s[24:25], 0
	s_cbranch_vccz .LBB20_8
; %bb.6:
	s_andn2_b64 vcc, exec, s[2:3]
	s_cbranch_vccz .LBB20_9
.LBB20_7:
	s_load_dwordx2 s[34:35], s[4:5], 0x48
	s_waitcnt lgkmcnt(0)
	v_cmp_lt_i64_e64 s[8:9], s[34:35], 1
	s_and_b64 vcc, exec, s[8:9]
	s_cbranch_vccz .LBB20_10
	s_branch .LBB20_53
.LBB20_8:
	s_lshl_b64 s[10:11], s[6:7], 3
	s_add_u32 s10, s8, s10
	s_addc_u32 s11, s9, s11
	s_load_dwordx2 s[10:11], s[10:11], 0x0
	s_waitcnt lgkmcnt(0)
	s_sub_u32 s24, s10, s21
	s_subb_u32 s25, s11, 0
	s_andn2_b64 vcc, exec, s[2:3]
	s_cbranch_vccnz .LBB20_7
.LBB20_9:
	s_lshl_b64 s[10:11], s[6:7], 3
	s_add_u32 s8, s8, s10
	s_addc_u32 s9, s9, s11
	s_load_dwordx2 s[8:9], s[8:9], 0x8
	s_waitcnt lgkmcnt(0)
	s_sub_u32 s30, s8, s21
	s_subb_u32 s31, s9, 0
	s_load_dwordx2 s[34:35], s[4:5], 0x48
	s_waitcnt lgkmcnt(0)
	v_cmp_lt_i64_e64 s[8:9], s[34:35], 1
	s_and_b64 vcc, exec, s[8:9]
	s_cbranch_vccnz .LBB20_53
.LBB20_10:
	s_load_dwordx4 s[8:11], s[4:5], 0x70
	s_load_dwordx4 s[12:15], s[4:5], 0x50
	;; [unrolled: 1-line block ×3, first 2 shown]
	s_load_dwordx2 s[38:39], s[4:5], 0x0
	v_lshl_add_u32 v7, s0, 5, v1
	v_mov_b32_e32 v8, 0
	v_lshlrev_b64 v[4:5], 2, v[7:8]
	s_waitcnt lgkmcnt(0)
	v_mov_b32_e32 v2, s9
	v_add_co_u32_e32 v0, vcc, s8, v4
	s_bitcmp1_b32 s38, 0
	v_addc_co_u32_e32 v27, vcc, v2, v5, vcc
	s_cselect_b64 s[0:1], -1, 0
	v_mov_b32_e32 v5, s12
	s_xor_b64 s[36:37], s[0:1], -1
	s_mul_i32 s0, s35, s6
	s_mul_hi_u32 s1, s34, s6
	v_mov_b32_e32 v6, s13
	s_add_i32 s23, s1, s0
	v_mad_u64_u32 v[5:6], s[0:1], s14, v7, v[5:6]
	v_mov_b32_e32 v4, v8
	s_cmp_lg_u32 s39, 0
	v_mov_b32_e32 v2, v6
	v_mad_u64_u32 v[9:10], s[0:1], s15, v7, v[2:3]
	v_cmp_gt_i64_e64 s[0:1], s[26:27], v[7:8]
	v_mov_b32_e32 v2, v8
	v_mov_b32_e32 v6, v9
	v_mad_u64_u32 v[9:10], s[4:5], s10, v7, 0
	s_cselect_b64 s[26:27], -1, 0
	s_and_b64 s[38:39], s[2:3], s[0:1]
	v_mov_b32_e32 v8, v10
	v_mad_u64_u32 v[10:11], s[2:3], s11, v7, v[8:9]
	v_mov_b32_e32 v32, s34
	s_cmp_lg_u32 s20, 1
	v_lshlrev_b64 v[8:9], 2, v[9:10]
	v_mov_b32_e32 v10, s9
	v_add_co_u32_e32 v30, vcc, s8, v8
	v_addc_co_u32_e32 v31, vcc, v10, v9, vcc
	v_mad_u64_u32 v[8:9], s[2:3], s24, v32, v[3:4]
	s_mul_i32 s2, s25, s34
	s_mul_i32 s3, s24, s35
	s_mov_b32 s33, s21
	s_cselect_b64 s[20:21], -1, 0
	s_add_i32 s4, s3, s2
	v_add_u32_e32 v9, s4, v9
	v_mul_lo_u32 v12, s34, v9
	v_mad_u64_u32 v[9:10], s[2:3], s34, v8, v[1:2]
	v_mul_lo_u32 v15, s35, v8
	v_mov_b32_e32 v11, s13
	v_add_co_u32_e32 v7, vcc, s12, v7
	v_addc_co_u32_e32 v8, vcc, 0, v11, vcc
	v_add3_u32 v10, v15, v10, v12
	v_mov_b32_e32 v11, s19
	v_add_co_u32_e32 v9, vcc, s18, v9
	v_addc_co_u32_e32 v10, vcc, v11, v10, vcc
	v_mad_u64_u32 v[11:12], s[2:3], s24, v32, v[1:2]
	v_mov_b32_e32 v13, s30
	v_mov_b32_e32 v14, s31
	v_add_u32_e32 v2, s4, v12
	v_mul_lo_u32 v2, s34, v2
	v_mad_u64_u32 v[15:16], s[2:3], s34, v11, v[3:4]
	v_mul_lo_u32 v11, s35, v11
	v_mov_b32_e32 v12, s19
	s_mul_i32 s29, s34, s6
	v_lshlrev_b32_e32 v28, 2, v3
	v_add3_u32 v2, v11, v16, v2
	v_add_co_u32_e32 v11, vcc, s18, v15
	v_addc_co_u32_e32 v12, vcc, v12, v2, vcc
	v_cmp_lt_i64_e32 vcc, s[24:25], v[13:14]
	s_mul_i32 s5, s34, s35
	s_mul_hi_u32 s6, s34, s34
	v_or_b32_e32 v17, 0x1000, v28
	v_lshlrev_b32_e32 v29, 7, v1
	s_add_i32 s2, s6, s5
	v_cndmask_b32_e64 v13, 0, 1, vcc
	v_cmp_neq_f32_e64 s[40:41], s28, 0
	s_lshl_b64 s[8:9], s[14:15], 5
	s_lshl_b64 s[12:13], s[34:35], 5
	s_add_i32 s48, s2, s5
	s_mul_i32 s49, s34, s34
	s_mov_b64 s[18:19], 0
	v_add_u32_e32 v2, v17, v29
	v_cmp_ne_u32_e64 s[2:3], 1, v13
	s_branch .LBB20_12
.LBB20_11:                              ;   in Loop: Header=BB20_12 Depth=1
	s_or_b64 exec, exec, s[4:5]
	v_mov_b32_e32 v13, s13
	v_add_co_u32_e32 v9, vcc, s12, v9
	s_add_u32 s18, s18, 32
	v_addc_co_u32_e32 v10, vcc, v10, v13, vcc
	v_mov_b32_e32 v13, s34
	s_addc_u32 s19, s19, 0
	v_mov_b32_e32 v14, s35
	v_cmp_lt_i64_e32 vcc, s[18:19], v[13:14]
	v_add_co_u32_e64 v11, s[4:5], 32, v11
	v_addc_co_u32_e64 v12, s[4:5], 0, v12, s[4:5]
	s_cbranch_vccz .LBB20_53
.LBB20_12:                              ; =>This Loop Header: Depth=1
                                        ;     Child Loop BB20_15 Depth 2
                                        ;       Child Loop BB20_19 Depth 3
	v_mov_b32_e32 v14, s19
	v_add_co_u32_e32 v13, vcc, s18, v3
	v_addc_co_u32_e32 v14, vcc, 0, v14, vcc
	v_cmp_gt_i64_e64 s[4:5], s[34:35], v[13:14]
	s_and_b64 vcc, exec, s[2:3]
	v_mov_b32_e32 v33, 0
	s_cbranch_vccnz .LBB20_41
; %bb.13:                               ;   in Loop: Header=BB20_12 Depth=1
	v_mov_b32_e32 v16, v12
	v_mov_b32_e32 v18, v10
	;; [unrolled: 1-line block ×5, first 2 shown]
	s_mov_b64 s[42:43], s[24:25]
	s_branch .LBB20_15
.LBB20_14:                              ;   in Loop: Header=BB20_15 Depth=2
	v_mov_b32_e32 v19, s48
	v_add_co_u32_e32 v17, vcc, s49, v17
	s_add_u32 s42, s42, 1
	v_addc_co_u32_e32 v18, vcc, v18, v19, vcc
	v_mov_b32_e32 v19, s30
	s_addc_u32 s43, s43, 0
	v_mov_b32_e32 v20, s31
	v_cmp_ge_i64_e32 vcc, s[42:43], v[19:20]
	v_mov_b32_e32 v21, s48
	v_add_co_u32_e64 v15, s[6:7], s49, v15
	v_addc_co_u32_e64 v16, s[6:7], v16, v21, s[6:7]
	s_cbranch_vccnz .LBB20_41
.LBB20_15:                              ;   Parent Loop BB20_12 Depth=1
                                        ; =>  This Loop Header: Depth=2
                                        ;       Child Loop BB20_19 Depth 3
	s_lshl_b64 s[6:7], s[42:43], 3
	s_add_u32 s6, s16, s6
	s_addc_u32 s7, s17, s7
	s_load_dwordx2 s[6:7], s[6:7], 0x0
	v_mov_b32_e32 v26, v4
	v_mov_b32_e32 v25, v3
	s_waitcnt lgkmcnt(0)
	s_sub_u32 s44, s6, s33
	s_subb_u32 s45, s7, 0
	v_mad_u64_u32 v[21:22], s[6:7], s44, v32, v[3:4]
	v_mad_u64_u32 v[19:20], s[6:7], s44, v32, v[5:6]
	s_mul_i32 s6, s44, s35
	s_mul_i32 s45, s45, s34
	s_add_i32 s44, s6, s45
	v_add_u32_e32 v22, s44, v22
	v_mul_lo_u32 v23, s14, v22
	v_mul_lo_u32 v24, s15, v21
	v_mad_u64_u32 v[21:22], s[6:7], s14, v21, v[7:8]
	v_add_u32_e32 v20, s44, v20
	s_mov_b64 s[44:45], 0
	v_add3_u32 v22, v24, v22, v23
	v_mov_b32_e32 v24, v16
	v_mov_b32_e32 v23, v15
	s_branch .LBB20_19
.LBB20_16:                              ;   in Loop: Header=BB20_19 Depth=3
	s_or_b64 exec, exec, s[46:47]
.LBB20_17:                              ;   in Loop: Header=BB20_19 Depth=3
	s_or_b64 exec, exec, s[6:7]
.LBB20_18:                              ;   in Loop: Header=BB20_19 Depth=3
	v_add_u32_e32 v35, v28, v29
	ds_write_b32 v35, v34
	s_waitcnt vmcnt(0) lgkmcnt(0)
	s_barrier
	ds_read2_b32 v[50:51], v28 offset1:32
	ds_read_b128 v[34:37], v29 offset:4096
	ds_read_b128 v[38:41], v29 offset:4112
	ds_read2_b32 v[52:53], v28 offset0:64 offset1:96
	ds_read_b128 v[42:45], v29 offset:4128
	ds_read_b128 v[46:49], v29 offset:4144
	ds_read2_b32 v[54:55], v28 offset0:128 offset1:160
	s_waitcnt lgkmcnt(5)
	v_fmac_f32_e32 v33, v50, v34
	v_fmac_f32_e32 v33, v51, v35
	ds_read2_b32 v[34:35], v28 offset0:192 offset1:224
	s_waitcnt lgkmcnt(4)
	v_fmac_f32_e32 v33, v52, v36
	v_fmac_f32_e32 v33, v53, v37
	s_waitcnt lgkmcnt(1)
	v_fmac_f32_e32 v33, v54, v38
	v_add_u32_e32 v50, 0x400, v28
	ds_read2_b32 v[36:37], v50 offset1:32
	v_fmac_f32_e32 v33, v55, v39
	s_waitcnt lgkmcnt(1)
	v_fmac_f32_e32 v33, v34, v40
	v_fmac_f32_e32 v33, v35, v41
	ds_read2_b32 v[34:35], v50 offset0:64 offset1:96
	ds_read2_b32 v[38:39], v50 offset0:128 offset1:160
	s_waitcnt lgkmcnt(2)
	v_fmac_f32_e32 v33, v36, v42
	v_fmac_f32_e32 v33, v37, v43
	ds_read2_b32 v[40:41], v50 offset0:192 offset1:224
	s_waitcnt lgkmcnt(2)
	v_fmac_f32_e32 v33, v34, v44
	v_fmac_f32_e32 v33, v35, v45
	s_waitcnt lgkmcnt(1)
	v_fmac_f32_e32 v33, v38, v46
	v_fmac_f32_e32 v33, v39, v47
	s_waitcnt lgkmcnt(0)
	v_fmac_f32_e32 v33, v40, v48
	v_add_u32_e32 v48, 0x800, v28
	ds_read2_b32 v[42:43], v48 offset1:32
	ds_read_b128 v[34:37], v29 offset:4160
	v_fmac_f32_e32 v33, v41, v49
	ds_read2_b32 v[44:45], v48 offset0:64 offset1:96
	ds_read2_b32 v[46:47], v48 offset0:128 offset1:160
	ds_read_b128 v[38:41], v29 offset:4176
	v_add_co_u32_e32 v25, vcc, 32, v25
	s_waitcnt lgkmcnt(3)
	v_fmac_f32_e32 v33, v42, v34
	v_fmac_f32_e32 v33, v43, v35
	ds_read2_b32 v[42:43], v48 offset0:192 offset1:224
	s_waitcnt lgkmcnt(3)
	v_fmac_f32_e32 v33, v44, v36
	v_fmac_f32_e32 v33, v45, v37
	v_add_u32_e32 v48, 0xc00, v28
	s_waitcnt lgkmcnt(1)
	v_fmac_f32_e32 v33, v46, v38
	ds_read2_b32 v[44:45], v48 offset1:32
	ds_read_b128 v[34:37], v29 offset:4192
	v_fmac_f32_e32 v33, v47, v39
	s_waitcnt lgkmcnt(2)
	v_fmac_f32_e32 v33, v42, v40
	v_fmac_f32_e32 v33, v43, v41
	ds_read2_b32 v[42:43], v48 offset0:64 offset1:96
	ds_read_b128 v[38:41], v29 offset:4208
	ds_read2_b32 v[46:47], v48 offset0:128 offset1:160
	s_waitcnt lgkmcnt(3)
	v_fmac_f32_e32 v33, v44, v34
	v_fmac_f32_e32 v33, v45, v35
	ds_read2_b32 v[34:35], v48 offset0:192 offset1:224
	s_waitcnt lgkmcnt(3)
	v_fmac_f32_e32 v33, v42, v36
	v_fmac_f32_e32 v33, v43, v37
	s_waitcnt lgkmcnt(1)
	v_fmac_f32_e32 v33, v46, v38
	v_fmac_f32_e32 v33, v47, v39
	v_addc_co_u32_e32 v26, vcc, 0, v26, vcc
	s_waitcnt lgkmcnt(0)
	v_fmac_f32_e32 v33, v34, v40
	v_mov_b32_e32 v34, s9
	v_add_co_u32_e32 v21, vcc, s8, v21
	v_fmac_f32_e32 v33, v35, v41
	s_add_u32 s44, s44, 32
	v_addc_co_u32_e32 v22, vcc, v22, v34, vcc
	v_mov_b32_e32 v34, s34
	s_addc_u32 s45, s45, 0
	v_mov_b32_e32 v35, s35
	v_cmp_ge_i64_e32 vcc, s[44:45], v[34:35]
	v_mov_b32_e32 v36, s13
	v_add_co_u32_e64 v23, s[6:7], s12, v23
	v_addc_co_u32_e64 v24, s[6:7], v24, v36, s[6:7]
	s_barrier
	s_cbranch_vccnz .LBB20_14
.LBB20_19:                              ;   Parent Loop BB20_12 Depth=1
                                        ;     Parent Loop BB20_15 Depth=2
                                        ; =>    This Inner Loop Header: Depth=3
	s_mov_b64 s[6:7], -1
	s_and_b64 vcc, exec, s[36:37]
                                        ; implicit-def: $vgpr34
	s_cbranch_vccnz .LBB20_27
; %bb.20:                               ;   in Loop: Header=BB20_19 Depth=3
	s_andn2_b64 vcc, exec, s[6:7]
	s_cbranch_vccz .LBB20_32
.LBB20_21:                              ;   in Loop: Header=BB20_19 Depth=3
	s_and_b64 vcc, exec, s[26:27]
	ds_write_b32 v2, v34
	s_cbranch_vccz .LBB20_37
.LBB20_22:                              ;   in Loop: Header=BB20_19 Depth=3
	v_mov_b32_e32 v34, 0
	s_and_saveexec_b64 s[6:7], s[4:5]
	s_cbranch_execz .LBB20_26
; %bb.23:                               ;   in Loop: Header=BB20_19 Depth=3
	v_mov_b32_e32 v35, s45
	v_add_co_u32_e32 v34, vcc, s44, v1
	v_addc_co_u32_e32 v35, vcc, 0, v35, vcc
	v_cmp_gt_i64_e32 vcc, s[34:35], v[34:35]
	v_mov_b32_e32 v34, 0
	s_and_saveexec_b64 s[46:47], vcc
	s_cbranch_execz .LBB20_25
; %bb.24:                               ;   in Loop: Header=BB20_19 Depth=3
	global_load_sbyte v34, v[23:24], off
	s_waitcnt vmcnt(0)
	v_cvt_f32_i32_e32 v34, v34
.LBB20_25:                              ;   in Loop: Header=BB20_19 Depth=3
	s_or_b64 exec, exec, s[46:47]
.LBB20_26:                              ;   in Loop: Header=BB20_19 Depth=3
	s_or_b64 exec, exec, s[6:7]
	s_cbranch_execnz .LBB20_18
	s_branch .LBB20_38
.LBB20_27:                              ;   in Loop: Header=BB20_19 Depth=3
	v_mov_b32_e32 v34, 0
	s_and_saveexec_b64 s[6:7], s[0:1]
	s_cbranch_execz .LBB20_31
; %bb.28:                               ;   in Loop: Header=BB20_19 Depth=3
	v_cmp_gt_i64_e32 vcc, s[34:35], v[25:26]
	v_mov_b32_e32 v34, 0
	s_and_saveexec_b64 s[46:47], vcc
	s_cbranch_execz .LBB20_30
; %bb.29:                               ;   in Loop: Header=BB20_19 Depth=3
	global_load_sbyte v34, v[21:22], off
	s_waitcnt vmcnt(0)
	v_cvt_f32_i32_e32 v34, v34
.LBB20_30:                              ;   in Loop: Header=BB20_19 Depth=3
	s_or_b64 exec, exec, s[46:47]
.LBB20_31:                              ;   in Loop: Header=BB20_19 Depth=3
	s_or_b64 exec, exec, s[6:7]
	s_cbranch_execnz .LBB20_21
.LBB20_32:                              ;   in Loop: Header=BB20_19 Depth=3
	v_mov_b32_e32 v34, 0
	s_and_saveexec_b64 s[6:7], s[0:1]
	s_cbranch_execz .LBB20_36
; %bb.33:                               ;   in Loop: Header=BB20_19 Depth=3
	v_cmp_gt_i64_e32 vcc, s[34:35], v[25:26]
	v_mov_b32_e32 v34, 0
	s_and_saveexec_b64 s[46:47], vcc
	s_cbranch_execz .LBB20_35
; %bb.34:                               ;   in Loop: Header=BB20_19 Depth=3
	v_add_co_u32_e32 v34, vcc, v19, v25
	v_addc_co_u32_e32 v35, vcc, v20, v26, vcc
	global_load_sbyte v34, v[34:35], off
	s_waitcnt vmcnt(0)
	v_cvt_f32_i32_e32 v34, v34
.LBB20_35:                              ;   in Loop: Header=BB20_19 Depth=3
	s_or_b64 exec, exec, s[46:47]
.LBB20_36:                              ;   in Loop: Header=BB20_19 Depth=3
	s_or_b64 exec, exec, s[6:7]
	s_and_b64 vcc, exec, s[26:27]
	ds_write_b32 v2, v34
	s_cbranch_vccnz .LBB20_22
.LBB20_37:                              ;   in Loop: Header=BB20_19 Depth=3
                                        ; implicit-def: $vgpr34
.LBB20_38:                              ;   in Loop: Header=BB20_19 Depth=3
	v_mov_b32_e32 v34, 0
	s_and_saveexec_b64 s[6:7], s[4:5]
	s_cbranch_execz .LBB20_17
; %bb.39:                               ;   in Loop: Header=BB20_19 Depth=3
	v_mov_b32_e32 v35, s45
	v_add_co_u32_e32 v34, vcc, s44, v1
	v_addc_co_u32_e32 v35, vcc, 0, v35, vcc
	v_cmp_gt_i64_e32 vcc, s[34:35], v[34:35]
	v_mov_b32_e32 v34, 0
	s_and_saveexec_b64 s[46:47], vcc
	s_cbranch_execz .LBB20_16
; %bb.40:                               ;   in Loop: Header=BB20_19 Depth=3
	v_mov_b32_e32 v35, s45
	v_add_co_u32_e32 v34, vcc, s44, v17
	v_addc_co_u32_e32 v35, vcc, v18, v35, vcc
	global_load_sbyte v34, v[34:35], off
	s_waitcnt vmcnt(0)
	v_cvt_f32_i32_e32 v34, v34
	s_branch .LBB20_16
.LBB20_41:                              ;   in Loop: Header=BB20_12 Depth=1
	v_cmp_gt_i64_e32 vcc, s[34:35], v[13:14]
	s_and_b64 s[6:7], s[38:39], vcc
	s_and_saveexec_b64 s[4:5], s[6:7]
	s_cbranch_execz .LBB20_11
; %bb.42:                               ;   in Loop: Header=BB20_12 Depth=1
	v_mov_b32_e32 v15, s23
	v_add_co_u32_e32 v13, vcc, s29, v13
	v_addc_co_u32_e32 v14, vcc, v14, v15, vcc
	s_mov_b64 s[6:7], -1
	s_and_b64 vcc, exec, s[40:41]
	s_cbranch_vccz .LBB20_48
; %bb.43:                               ;   in Loop: Header=BB20_12 Depth=1
	s_and_b64 vcc, exec, s[20:21]
	s_cbranch_vccz .LBB20_45
; %bb.44:                               ;   in Loop: Header=BB20_12 Depth=1
	v_mul_lo_u32 v17, v14, s10
	v_mul_lo_u32 v18, v13, s11
	v_mad_u64_u32 v[15:16], s[6:7], v13, s10, 0
	s_mov_b64 s[6:7], 0
	v_add3_u32 v16, v16, v18, v17
	v_lshlrev_b64 v[15:16], 2, v[15:16]
	v_mul_f32_e32 v18, s22, v33
	v_add_co_u32_e32 v15, vcc, v0, v15
	v_addc_co_u32_e32 v16, vcc, v27, v16, vcc
	global_load_dword v17, v[15:16], off
	s_waitcnt vmcnt(0)
	v_fmac_f32_e32 v18, s28, v17
	global_store_dword v[15:16], v18, off
.LBB20_45:                              ;   in Loop: Header=BB20_12 Depth=1
	s_andn2_b64 vcc, exec, s[6:7]
	s_cbranch_vccnz .LBB20_47
; %bb.46:                               ;   in Loop: Header=BB20_12 Depth=1
	v_lshlrev_b64 v[15:16], 2, v[13:14]
	v_mul_f32_e32 v18, s22, v33
	v_add_co_u32_e32 v15, vcc, v30, v15
	v_addc_co_u32_e32 v16, vcc, v31, v16, vcc
	global_load_dword v17, v[15:16], off
	s_waitcnt vmcnt(0)
	v_fmac_f32_e32 v18, s28, v17
	global_store_dword v[15:16], v18, off
.LBB20_47:                              ;   in Loop: Header=BB20_12 Depth=1
	s_mov_b64 s[6:7], 0
.LBB20_48:                              ;   in Loop: Header=BB20_12 Depth=1
	s_andn2_b64 vcc, exec, s[6:7]
	s_cbranch_vccnz .LBB20_11
; %bb.49:                               ;   in Loop: Header=BB20_12 Depth=1
	v_mul_f32_e32 v15, s22, v33
	s_mov_b64 s[6:7], -1
	s_and_b64 vcc, exec, s[20:21]
	s_cbranch_vccz .LBB20_51
; %bb.50:                               ;   in Loop: Header=BB20_12 Depth=1
	v_mul_lo_u32 v18, v14, s10
	v_mul_lo_u32 v19, v13, s11
	v_mad_u64_u32 v[16:17], s[6:7], v13, s10, 0
	s_mov_b64 s[6:7], 0
	v_add3_u32 v17, v17, v19, v18
	v_lshlrev_b64 v[16:17], 2, v[16:17]
	v_add_co_u32_e32 v16, vcc, v0, v16
	v_addc_co_u32_e32 v17, vcc, v27, v17, vcc
	global_store_dword v[16:17], v15, off
.LBB20_51:                              ;   in Loop: Header=BB20_12 Depth=1
	s_andn2_b64 vcc, exec, s[6:7]
	s_cbranch_vccnz .LBB20_11
; %bb.52:                               ;   in Loop: Header=BB20_12 Depth=1
	v_lshlrev_b64 v[13:14], 2, v[13:14]
	v_add_co_u32_e32 v13, vcc, v30, v13
	v_addc_co_u32_e32 v14, vcc, v31, v14, vcc
	global_store_dword v[13:14], v15, off
	s_branch .LBB20_11
.LBB20_53:
	s_endpgm
	.section	.rodata,"a",@progbits
	.p2align	6, 0x0
	.amdhsa_kernel _ZN9rocsparseL29bsrmm_general_blockdim_kernelILj32ELj32EllaaffEEvb20rocsparse_direction_T2_S2_llNS_24const_host_device_scalarIT6_EEPKT1_PKS2_PKT3_S2_PKT4_llS5_PT5_ll16rocsparse_order_21rocsparse_index_base_b
		.amdhsa_group_segment_fixed_size 8192
		.amdhsa_private_segment_fixed_size 0
		.amdhsa_kernarg_size 148
		.amdhsa_user_sgpr_count 6
		.amdhsa_user_sgpr_private_segment_buffer 1
		.amdhsa_user_sgpr_dispatch_ptr 0
		.amdhsa_user_sgpr_queue_ptr 0
		.amdhsa_user_sgpr_kernarg_segment_ptr 1
		.amdhsa_user_sgpr_dispatch_id 0
		.amdhsa_user_sgpr_flat_scratch_init 0
		.amdhsa_user_sgpr_private_segment_size 0
		.amdhsa_uses_dynamic_stack 0
		.amdhsa_system_sgpr_private_segment_wavefront_offset 0
		.amdhsa_system_sgpr_workgroup_id_x 1
		.amdhsa_system_sgpr_workgroup_id_y 1
		.amdhsa_system_sgpr_workgroup_id_z 0
		.amdhsa_system_sgpr_workgroup_info 0
		.amdhsa_system_vgpr_workitem_id 1
		.amdhsa_next_free_vgpr 56
		.amdhsa_next_free_sgpr 61
		.amdhsa_reserve_vcc 1
		.amdhsa_reserve_flat_scratch 0
		.amdhsa_float_round_mode_32 0
		.amdhsa_float_round_mode_16_64 0
		.amdhsa_float_denorm_mode_32 3
		.amdhsa_float_denorm_mode_16_64 3
		.amdhsa_dx10_clamp 1
		.amdhsa_ieee_mode 1
		.amdhsa_fp16_overflow 0
		.amdhsa_exception_fp_ieee_invalid_op 0
		.amdhsa_exception_fp_denorm_src 0
		.amdhsa_exception_fp_ieee_div_zero 0
		.amdhsa_exception_fp_ieee_overflow 0
		.amdhsa_exception_fp_ieee_underflow 0
		.amdhsa_exception_fp_ieee_inexact 0
		.amdhsa_exception_int_div_zero 0
	.end_amdhsa_kernel
	.section	.text._ZN9rocsparseL29bsrmm_general_blockdim_kernelILj32ELj32EllaaffEEvb20rocsparse_direction_T2_S2_llNS_24const_host_device_scalarIT6_EEPKT1_PKS2_PKT3_S2_PKT4_llS5_PT5_ll16rocsparse_order_21rocsparse_index_base_b,"axG",@progbits,_ZN9rocsparseL29bsrmm_general_blockdim_kernelILj32ELj32EllaaffEEvb20rocsparse_direction_T2_S2_llNS_24const_host_device_scalarIT6_EEPKT1_PKS2_PKT3_S2_PKT4_llS5_PT5_ll16rocsparse_order_21rocsparse_index_base_b,comdat
.Lfunc_end20:
	.size	_ZN9rocsparseL29bsrmm_general_blockdim_kernelILj32ELj32EllaaffEEvb20rocsparse_direction_T2_S2_llNS_24const_host_device_scalarIT6_EEPKT1_PKS2_PKT3_S2_PKT4_llS5_PT5_ll16rocsparse_order_21rocsparse_index_base_b, .Lfunc_end20-_ZN9rocsparseL29bsrmm_general_blockdim_kernelILj32ELj32EllaaffEEvb20rocsparse_direction_T2_S2_llNS_24const_host_device_scalarIT6_EEPKT1_PKS2_PKT3_S2_PKT4_llS5_PT5_ll16rocsparse_order_21rocsparse_index_base_b
                                        ; -- End function
	.set _ZN9rocsparseL29bsrmm_general_blockdim_kernelILj32ELj32EllaaffEEvb20rocsparse_direction_T2_S2_llNS_24const_host_device_scalarIT6_EEPKT1_PKS2_PKT3_S2_PKT4_llS5_PT5_ll16rocsparse_order_21rocsparse_index_base_b.num_vgpr, 56
	.set _ZN9rocsparseL29bsrmm_general_blockdim_kernelILj32ELj32EllaaffEEvb20rocsparse_direction_T2_S2_llNS_24const_host_device_scalarIT6_EEPKT1_PKS2_PKT3_S2_PKT4_llS5_PT5_ll16rocsparse_order_21rocsparse_index_base_b.num_agpr, 0
	.set _ZN9rocsparseL29bsrmm_general_blockdim_kernelILj32ELj32EllaaffEEvb20rocsparse_direction_T2_S2_llNS_24const_host_device_scalarIT6_EEPKT1_PKS2_PKT3_S2_PKT4_llS5_PT5_ll16rocsparse_order_21rocsparse_index_base_b.numbered_sgpr, 50
	.set _ZN9rocsparseL29bsrmm_general_blockdim_kernelILj32ELj32EllaaffEEvb20rocsparse_direction_T2_S2_llNS_24const_host_device_scalarIT6_EEPKT1_PKS2_PKT3_S2_PKT4_llS5_PT5_ll16rocsparse_order_21rocsparse_index_base_b.num_named_barrier, 0
	.set _ZN9rocsparseL29bsrmm_general_blockdim_kernelILj32ELj32EllaaffEEvb20rocsparse_direction_T2_S2_llNS_24const_host_device_scalarIT6_EEPKT1_PKS2_PKT3_S2_PKT4_llS5_PT5_ll16rocsparse_order_21rocsparse_index_base_b.private_seg_size, 0
	.set _ZN9rocsparseL29bsrmm_general_blockdim_kernelILj32ELj32EllaaffEEvb20rocsparse_direction_T2_S2_llNS_24const_host_device_scalarIT6_EEPKT1_PKS2_PKT3_S2_PKT4_llS5_PT5_ll16rocsparse_order_21rocsparse_index_base_b.uses_vcc, 1
	.set _ZN9rocsparseL29bsrmm_general_blockdim_kernelILj32ELj32EllaaffEEvb20rocsparse_direction_T2_S2_llNS_24const_host_device_scalarIT6_EEPKT1_PKS2_PKT3_S2_PKT4_llS5_PT5_ll16rocsparse_order_21rocsparse_index_base_b.uses_flat_scratch, 0
	.set _ZN9rocsparseL29bsrmm_general_blockdim_kernelILj32ELj32EllaaffEEvb20rocsparse_direction_T2_S2_llNS_24const_host_device_scalarIT6_EEPKT1_PKS2_PKT3_S2_PKT4_llS5_PT5_ll16rocsparse_order_21rocsparse_index_base_b.has_dyn_sized_stack, 0
	.set _ZN9rocsparseL29bsrmm_general_blockdim_kernelILj32ELj32EllaaffEEvb20rocsparse_direction_T2_S2_llNS_24const_host_device_scalarIT6_EEPKT1_PKS2_PKT3_S2_PKT4_llS5_PT5_ll16rocsparse_order_21rocsparse_index_base_b.has_recursion, 0
	.set _ZN9rocsparseL29bsrmm_general_blockdim_kernelILj32ELj32EllaaffEEvb20rocsparse_direction_T2_S2_llNS_24const_host_device_scalarIT6_EEPKT1_PKS2_PKT3_S2_PKT4_llS5_PT5_ll16rocsparse_order_21rocsparse_index_base_b.has_indirect_call, 0
	.section	.AMDGPU.csdata,"",@progbits
; Kernel info:
; codeLenInByte = 2176
; TotalNumSgprs: 54
; NumVgprs: 56
; ScratchSize: 0
; MemoryBound: 0
; FloatMode: 240
; IeeeMode: 1
; LDSByteSize: 8192 bytes/workgroup (compile time only)
; SGPRBlocks: 8
; VGPRBlocks: 13
; NumSGPRsForWavesPerEU: 65
; NumVGPRsForWavesPerEU: 56
; Occupancy: 4
; WaveLimiterHint : 1
; COMPUTE_PGM_RSRC2:SCRATCH_EN: 0
; COMPUTE_PGM_RSRC2:USER_SGPR: 6
; COMPUTE_PGM_RSRC2:TRAP_HANDLER: 0
; COMPUTE_PGM_RSRC2:TGID_X_EN: 1
; COMPUTE_PGM_RSRC2:TGID_Y_EN: 1
; COMPUTE_PGM_RSRC2:TGID_Z_EN: 0
; COMPUTE_PGM_RSRC2:TIDIG_COMP_CNT: 1
	.section	.AMDGPU.gpr_maximums,"",@progbits
	.set amdgpu.max_num_vgpr, 0
	.set amdgpu.max_num_agpr, 0
	.set amdgpu.max_num_sgpr, 0
	.section	.AMDGPU.csdata,"",@progbits
	.type	__hip_cuid_abc96d34777ee77d,@object ; @__hip_cuid_abc96d34777ee77d
	.section	.bss,"aw",@nobits
	.globl	__hip_cuid_abc96d34777ee77d
__hip_cuid_abc96d34777ee77d:
	.byte	0                               ; 0x0
	.size	__hip_cuid_abc96d34777ee77d, 1

	.ident	"AMD clang version 22.0.0git (https://github.com/RadeonOpenCompute/llvm-project roc-7.2.4 26084 f58b06dce1f9c15707c5f808fd002e18c2accf7e)"
	.section	".note.GNU-stack","",@progbits
	.addrsig
	.addrsig_sym __hip_cuid_abc96d34777ee77d
	.amdgpu_metadata
---
amdhsa.kernels:
  - .args:
      - .offset:         0
        .size:           1
        .value_kind:     by_value
      - .offset:         4
        .size:           4
        .value_kind:     by_value
      - .offset:         8
        .size:           4
        .value_kind:     by_value
      - .offset:         12
        .size:           4
        .value_kind:     by_value
      - .offset:         16
        .size:           8
        .value_kind:     by_value
      - .offset:         24
        .size:           8
        .value_kind:     by_value
      - .offset:         32
        .size:           8
        .value_kind:     by_value
      - .actual_access:  read_only
        .address_space:  global
        .offset:         40
        .size:           8
        .value_kind:     global_buffer
      - .actual_access:  read_only
        .address_space:  global
        .offset:         48
        .size:           8
        .value_kind:     global_buffer
      - .actual_access:  read_only
        .address_space:  global
        .offset:         56
        .size:           8
        .value_kind:     global_buffer
      - .offset:         64
        .size:           4
        .value_kind:     by_value
      - .actual_access:  read_only
        .address_space:  global
        .offset:         72
        .size:           8
        .value_kind:     global_buffer
      - .offset:         80
        .size:           8
        .value_kind:     by_value
      - .offset:         88
        .size:           8
        .value_kind:     by_value
      - .offset:         96
        .size:           8
        .value_kind:     by_value
      - .address_space:  global
        .offset:         104
        .size:           8
        .value_kind:     global_buffer
      - .offset:         112
        .size:           8
        .value_kind:     by_value
      - .offset:         120
        .size:           8
        .value_kind:     by_value
      - .offset:         128
        .size:           4
        .value_kind:     by_value
      - .offset:         132
        .size:           4
        .value_kind:     by_value
      - .offset:         136
        .size:           1
        .value_kind:     by_value
    .group_segment_fixed_size: 8192
    .kernarg_segment_align: 8
    .kernarg_segment_size: 140
    .language:       OpenCL C
    .language_version:
      - 2
      - 0
    .max_flat_workgroup_size: 1024
    .name:           _ZN9rocsparseL29bsrmm_general_blockdim_kernelILj32ELj32EiiffffEEvb20rocsparse_direction_T2_S2_llNS_24const_host_device_scalarIT6_EEPKT1_PKS2_PKT3_S2_PKT4_llS5_PT5_ll16rocsparse_order_21rocsparse_index_base_b
    .private_segment_fixed_size: 0
    .sgpr_count:     52
    .sgpr_spill_count: 0
    .symbol:         _ZN9rocsparseL29bsrmm_general_blockdim_kernelILj32ELj32EiiffffEEvb20rocsparse_direction_T2_S2_llNS_24const_host_device_scalarIT6_EEPKT1_PKS2_PKT3_S2_PKT4_llS5_PT5_ll16rocsparse_order_21rocsparse_index_base_b.kd
    .uniform_work_group_size: 1
    .uses_dynamic_stack: false
    .vgpr_count:     40
    .vgpr_spill_count: 0
    .wavefront_size: 64
  - .args:
      - .offset:         0
        .size:           1
        .value_kind:     by_value
      - .offset:         4
        .size:           4
        .value_kind:     by_value
      - .offset:         8
        .size:           4
        .value_kind:     by_value
      - .offset:         12
        .size:           4
        .value_kind:     by_value
      - .offset:         16
        .size:           8
        .value_kind:     by_value
      - .offset:         24
        .size:           8
        .value_kind:     by_value
      - .offset:         32
        .size:           8
        .value_kind:     by_value
      - .actual_access:  read_only
        .address_space:  global
        .offset:         40
        .size:           8
        .value_kind:     global_buffer
      - .actual_access:  read_only
        .address_space:  global
        .offset:         48
        .size:           8
        .value_kind:     global_buffer
      - .actual_access:  read_only
        .address_space:  global
        .offset:         56
        .size:           8
        .value_kind:     global_buffer
      - .offset:         64
        .size:           4
        .value_kind:     by_value
      - .actual_access:  read_only
        .address_space:  global
        .offset:         72
        .size:           8
        .value_kind:     global_buffer
      - .offset:         80
        .size:           8
        .value_kind:     by_value
      - .offset:         88
        .size:           8
        .value_kind:     by_value
      - .offset:         96
        .size:           8
        .value_kind:     by_value
      - .address_space:  global
        .offset:         104
        .size:           8
        .value_kind:     global_buffer
      - .offset:         112
        .size:           8
        .value_kind:     by_value
      - .offset:         120
        .size:           8
        .value_kind:     by_value
      - .offset:         128
        .size:           4
        .value_kind:     by_value
      - .offset:         132
        .size:           4
        .value_kind:     by_value
      - .offset:         136
        .size:           1
        .value_kind:     by_value
    .group_segment_fixed_size: 8192
    .kernarg_segment_align: 8
    .kernarg_segment_size: 140
    .language:       OpenCL C
    .language_version:
      - 2
      - 0
    .max_flat_workgroup_size: 1024
    .name:           _ZN9rocsparseL29bsrmm_general_blockdim_kernelILj32ELj32EliffffEEvb20rocsparse_direction_T2_S2_llNS_24const_host_device_scalarIT6_EEPKT1_PKS2_PKT3_S2_PKT4_llS5_PT5_ll16rocsparse_order_21rocsparse_index_base_b
    .private_segment_fixed_size: 0
    .sgpr_count:     53
    .sgpr_spill_count: 0
    .symbol:         _ZN9rocsparseL29bsrmm_general_blockdim_kernelILj32ELj32EliffffEEvb20rocsparse_direction_T2_S2_llNS_24const_host_device_scalarIT6_EEPKT1_PKS2_PKT3_S2_PKT4_llS5_PT5_ll16rocsparse_order_21rocsparse_index_base_b.kd
    .uniform_work_group_size: 1
    .uses_dynamic_stack: false
    .vgpr_count:     39
    .vgpr_spill_count: 0
    .wavefront_size: 64
  - .args:
      - .offset:         0
        .size:           1
        .value_kind:     by_value
      - .offset:         4
        .size:           4
        .value_kind:     by_value
      - .offset:         8
        .size:           8
        .value_kind:     by_value
      - .offset:         16
        .size:           8
        .value_kind:     by_value
      - .offset:         24
        .size:           8
        .value_kind:     by_value
      - .offset:         32
        .size:           8
        .value_kind:     by_value
      - .offset:         40
        .size:           8
        .value_kind:     by_value
      - .actual_access:  read_only
        .address_space:  global
        .offset:         48
        .size:           8
        .value_kind:     global_buffer
      - .actual_access:  read_only
        .address_space:  global
        .offset:         56
        .size:           8
        .value_kind:     global_buffer
      - .actual_access:  read_only
        .address_space:  global
        .offset:         64
        .size:           8
        .value_kind:     global_buffer
      - .offset:         72
        .size:           8
        .value_kind:     by_value
      - .actual_access:  read_only
        .address_space:  global
        .offset:         80
        .size:           8
        .value_kind:     global_buffer
      - .offset:         88
        .size:           8
        .value_kind:     by_value
      - .offset:         96
        .size:           8
        .value_kind:     by_value
      - .offset:         104
        .size:           8
        .value_kind:     by_value
      - .address_space:  global
        .offset:         112
        .size:           8
        .value_kind:     global_buffer
      - .offset:         120
        .size:           8
        .value_kind:     by_value
      - .offset:         128
        .size:           8
        .value_kind:     by_value
      - .offset:         136
        .size:           4
        .value_kind:     by_value
      - .offset:         140
        .size:           4
        .value_kind:     by_value
      - .offset:         144
        .size:           1
        .value_kind:     by_value
    .group_segment_fixed_size: 8192
    .kernarg_segment_align: 8
    .kernarg_segment_size: 148
    .language:       OpenCL C
    .language_version:
      - 2
      - 0
    .max_flat_workgroup_size: 1024
    .name:           _ZN9rocsparseL29bsrmm_general_blockdim_kernelILj32ELj32EllffffEEvb20rocsparse_direction_T2_S2_llNS_24const_host_device_scalarIT6_EEPKT1_PKS2_PKT3_S2_PKT4_llS5_PT5_ll16rocsparse_order_21rocsparse_index_base_b
    .private_segment_fixed_size: 0
    .sgpr_count:     57
    .sgpr_spill_count: 0
    .symbol:         _ZN9rocsparseL29bsrmm_general_blockdim_kernelILj32ELj32EllffffEEvb20rocsparse_direction_T2_S2_llNS_24const_host_device_scalarIT6_EEPKT1_PKS2_PKT3_S2_PKT4_llS5_PT5_ll16rocsparse_order_21rocsparse_index_base_b.kd
    .uniform_work_group_size: 1
    .uses_dynamic_stack: false
    .vgpr_count:     55
    .vgpr_spill_count: 0
    .wavefront_size: 64
  - .args:
      - .offset:         0
        .size:           1
        .value_kind:     by_value
      - .offset:         4
        .size:           4
        .value_kind:     by_value
      - .offset:         8
        .size:           4
        .value_kind:     by_value
      - .offset:         12
        .size:           4
        .value_kind:     by_value
      - .offset:         16
        .size:           8
        .value_kind:     by_value
      - .offset:         24
        .size:           8
        .value_kind:     by_value
      - .offset:         32
        .size:           8
        .value_kind:     by_value
      - .actual_access:  read_only
        .address_space:  global
        .offset:         40
        .size:           8
        .value_kind:     global_buffer
      - .actual_access:  read_only
        .address_space:  global
        .offset:         48
        .size:           8
        .value_kind:     global_buffer
      - .actual_access:  read_only
        .address_space:  global
        .offset:         56
        .size:           8
        .value_kind:     global_buffer
      - .offset:         64
        .size:           4
        .value_kind:     by_value
      - .actual_access:  read_only
        .address_space:  global
        .offset:         72
        .size:           8
        .value_kind:     global_buffer
      - .offset:         80
        .size:           8
        .value_kind:     by_value
      - .offset:         88
        .size:           8
        .value_kind:     by_value
      - .offset:         96
        .size:           8
        .value_kind:     by_value
      - .address_space:  global
        .offset:         104
        .size:           8
        .value_kind:     global_buffer
      - .offset:         112
        .size:           8
        .value_kind:     by_value
      - .offset:         120
        .size:           8
        .value_kind:     by_value
      - .offset:         128
        .size:           4
        .value_kind:     by_value
      - .offset:         132
        .size:           4
        .value_kind:     by_value
      - .offset:         136
        .size:           1
        .value_kind:     by_value
    .group_segment_fixed_size: 16384
    .kernarg_segment_align: 8
    .kernarg_segment_size: 140
    .language:       OpenCL C
    .language_version:
      - 2
      - 0
    .max_flat_workgroup_size: 1024
    .name:           _ZN9rocsparseL29bsrmm_general_blockdim_kernelILj32ELj32EiiddddEEvb20rocsparse_direction_T2_S2_llNS_24const_host_device_scalarIT6_EEPKT1_PKS2_PKT3_S2_PKT4_llS5_PT5_ll16rocsparse_order_21rocsparse_index_base_b
    .private_segment_fixed_size: 0
    .sgpr_count:     50
    .sgpr_spill_count: 0
    .symbol:         _ZN9rocsparseL29bsrmm_general_blockdim_kernelILj32ELj32EiiddddEEvb20rocsparse_direction_T2_S2_llNS_24const_host_device_scalarIT6_EEPKT1_PKS2_PKT3_S2_PKT4_llS5_PT5_ll16rocsparse_order_21rocsparse_index_base_b.kd
    .uniform_work_group_size: 1
    .uses_dynamic_stack: false
    .vgpr_count:     38
    .vgpr_spill_count: 0
    .wavefront_size: 64
  - .args:
      - .offset:         0
        .size:           1
        .value_kind:     by_value
      - .offset:         4
        .size:           4
        .value_kind:     by_value
      - .offset:         8
        .size:           4
        .value_kind:     by_value
      - .offset:         12
        .size:           4
        .value_kind:     by_value
      - .offset:         16
        .size:           8
        .value_kind:     by_value
      - .offset:         24
        .size:           8
        .value_kind:     by_value
      - .offset:         32
        .size:           8
        .value_kind:     by_value
      - .actual_access:  read_only
        .address_space:  global
        .offset:         40
        .size:           8
        .value_kind:     global_buffer
      - .actual_access:  read_only
        .address_space:  global
        .offset:         48
        .size:           8
        .value_kind:     global_buffer
      - .actual_access:  read_only
        .address_space:  global
        .offset:         56
        .size:           8
        .value_kind:     global_buffer
      - .offset:         64
        .size:           4
        .value_kind:     by_value
      - .actual_access:  read_only
        .address_space:  global
        .offset:         72
        .size:           8
        .value_kind:     global_buffer
      - .offset:         80
        .size:           8
        .value_kind:     by_value
      - .offset:         88
        .size:           8
        .value_kind:     by_value
      - .offset:         96
        .size:           8
        .value_kind:     by_value
      - .address_space:  global
        .offset:         104
        .size:           8
        .value_kind:     global_buffer
      - .offset:         112
        .size:           8
        .value_kind:     by_value
      - .offset:         120
        .size:           8
        .value_kind:     by_value
      - .offset:         128
        .size:           4
        .value_kind:     by_value
      - .offset:         132
        .size:           4
        .value_kind:     by_value
      - .offset:         136
        .size:           1
        .value_kind:     by_value
    .group_segment_fixed_size: 16384
    .kernarg_segment_align: 8
    .kernarg_segment_size: 140
    .language:       OpenCL C
    .language_version:
      - 2
      - 0
    .max_flat_workgroup_size: 1024
    .name:           _ZN9rocsparseL29bsrmm_general_blockdim_kernelILj32ELj32EliddddEEvb20rocsparse_direction_T2_S2_llNS_24const_host_device_scalarIT6_EEPKT1_PKS2_PKT3_S2_PKT4_llS5_PT5_ll16rocsparse_order_21rocsparse_index_base_b
    .private_segment_fixed_size: 0
    .sgpr_count:     51
    .sgpr_spill_count: 0
    .symbol:         _ZN9rocsparseL29bsrmm_general_blockdim_kernelILj32ELj32EliddddEEvb20rocsparse_direction_T2_S2_llNS_24const_host_device_scalarIT6_EEPKT1_PKS2_PKT3_S2_PKT4_llS5_PT5_ll16rocsparse_order_21rocsparse_index_base_b.kd
    .uniform_work_group_size: 1
    .uses_dynamic_stack: false
    .vgpr_count:     34
    .vgpr_spill_count: 0
    .wavefront_size: 64
  - .args:
      - .offset:         0
        .size:           1
        .value_kind:     by_value
      - .offset:         4
        .size:           4
        .value_kind:     by_value
      - .offset:         8
        .size:           8
        .value_kind:     by_value
      - .offset:         16
        .size:           8
        .value_kind:     by_value
      - .offset:         24
        .size:           8
        .value_kind:     by_value
      - .offset:         32
        .size:           8
        .value_kind:     by_value
      - .offset:         40
        .size:           8
        .value_kind:     by_value
      - .actual_access:  read_only
        .address_space:  global
        .offset:         48
        .size:           8
        .value_kind:     global_buffer
      - .actual_access:  read_only
        .address_space:  global
        .offset:         56
        .size:           8
        .value_kind:     global_buffer
      - .actual_access:  read_only
        .address_space:  global
        .offset:         64
        .size:           8
        .value_kind:     global_buffer
      - .offset:         72
        .size:           8
        .value_kind:     by_value
      - .actual_access:  read_only
        .address_space:  global
        .offset:         80
        .size:           8
        .value_kind:     global_buffer
      - .offset:         88
        .size:           8
        .value_kind:     by_value
      - .offset:         96
        .size:           8
        .value_kind:     by_value
      - .offset:         104
        .size:           8
        .value_kind:     by_value
      - .address_space:  global
        .offset:         112
        .size:           8
        .value_kind:     global_buffer
      - .offset:         120
        .size:           8
        .value_kind:     by_value
      - .offset:         128
        .size:           8
        .value_kind:     by_value
      - .offset:         136
        .size:           4
        .value_kind:     by_value
      - .offset:         140
        .size:           4
        .value_kind:     by_value
      - .offset:         144
        .size:           1
        .value_kind:     by_value
    .group_segment_fixed_size: 16384
    .kernarg_segment_align: 8
    .kernarg_segment_size: 148
    .language:       OpenCL C
    .language_version:
      - 2
      - 0
    .max_flat_workgroup_size: 1024
    .name:           _ZN9rocsparseL29bsrmm_general_blockdim_kernelILj32ELj32EllddddEEvb20rocsparse_direction_T2_S2_llNS_24const_host_device_scalarIT6_EEPKT1_PKS2_PKT3_S2_PKT4_llS5_PT5_ll16rocsparse_order_21rocsparse_index_base_b
    .private_segment_fixed_size: 0
    .sgpr_count:     55
    .sgpr_spill_count: 0
    .symbol:         _ZN9rocsparseL29bsrmm_general_blockdim_kernelILj32ELj32EllddddEEvb20rocsparse_direction_T2_S2_llNS_24const_host_device_scalarIT6_EEPKT1_PKS2_PKT3_S2_PKT4_llS5_PT5_ll16rocsparse_order_21rocsparse_index_base_b.kd
    .uniform_work_group_size: 1
    .uses_dynamic_stack: false
    .vgpr_count:     51
    .vgpr_spill_count: 0
    .wavefront_size: 64
  - .args:
      - .offset:         0
        .size:           1
        .value_kind:     by_value
      - .offset:         4
        .size:           4
        .value_kind:     by_value
      - .offset:         8
        .size:           4
        .value_kind:     by_value
      - .offset:         12
        .size:           4
        .value_kind:     by_value
      - .offset:         16
        .size:           8
        .value_kind:     by_value
      - .offset:         24
        .size:           8
        .value_kind:     by_value
      - .offset:         32
        .size:           8
        .value_kind:     by_value
      - .actual_access:  read_only
        .address_space:  global
        .offset:         40
        .size:           8
        .value_kind:     global_buffer
      - .actual_access:  read_only
        .address_space:  global
        .offset:         48
        .size:           8
        .value_kind:     global_buffer
      - .actual_access:  read_only
        .address_space:  global
        .offset:         56
        .size:           8
        .value_kind:     global_buffer
      - .offset:         64
        .size:           4
        .value_kind:     by_value
      - .actual_access:  read_only
        .address_space:  global
        .offset:         72
        .size:           8
        .value_kind:     global_buffer
      - .offset:         80
        .size:           8
        .value_kind:     by_value
      - .offset:         88
        .size:           8
        .value_kind:     by_value
      - .offset:         96
        .size:           8
        .value_kind:     by_value
      - .address_space:  global
        .offset:         104
        .size:           8
        .value_kind:     global_buffer
      - .offset:         112
        .size:           8
        .value_kind:     by_value
      - .offset:         120
        .size:           8
        .value_kind:     by_value
      - .offset:         128
        .size:           4
        .value_kind:     by_value
      - .offset:         132
        .size:           4
        .value_kind:     by_value
      - .offset:         136
        .size:           1
        .value_kind:     by_value
    .group_segment_fixed_size: 16384
    .kernarg_segment_align: 8
    .kernarg_segment_size: 140
    .language:       OpenCL C
    .language_version:
      - 2
      - 0
    .max_flat_workgroup_size: 1024
    .name:           _ZN9rocsparseL29bsrmm_general_blockdim_kernelILj32ELj32Eii21rocsparse_complex_numIfES2_S2_S2_EEvb20rocsparse_direction_T2_S4_llNS_24const_host_device_scalarIT6_EEPKT1_PKS4_PKT3_S4_PKT4_llS7_PT5_ll16rocsparse_order_21rocsparse_index_base_b
    .private_segment_fixed_size: 0
    .sgpr_count:     50
    .sgpr_spill_count: 0
    .symbol:         _ZN9rocsparseL29bsrmm_general_blockdim_kernelILj32ELj32Eii21rocsparse_complex_numIfES2_S2_S2_EEvb20rocsparse_direction_T2_S4_llNS_24const_host_device_scalarIT6_EEPKT1_PKS4_PKT3_S4_PKT4_llS7_PT5_ll16rocsparse_order_21rocsparse_index_base_b.kd
    .uniform_work_group_size: 1
    .uses_dynamic_stack: false
    .vgpr_count:     47
    .vgpr_spill_count: 0
    .wavefront_size: 64
  - .args:
      - .offset:         0
        .size:           1
        .value_kind:     by_value
      - .offset:         4
        .size:           4
        .value_kind:     by_value
      - .offset:         8
        .size:           4
        .value_kind:     by_value
      - .offset:         12
        .size:           4
        .value_kind:     by_value
      - .offset:         16
        .size:           8
        .value_kind:     by_value
      - .offset:         24
        .size:           8
        .value_kind:     by_value
      - .offset:         32
        .size:           8
        .value_kind:     by_value
      - .actual_access:  read_only
        .address_space:  global
        .offset:         40
        .size:           8
        .value_kind:     global_buffer
      - .actual_access:  read_only
        .address_space:  global
        .offset:         48
        .size:           8
        .value_kind:     global_buffer
      - .actual_access:  read_only
        .address_space:  global
        .offset:         56
        .size:           8
        .value_kind:     global_buffer
      - .offset:         64
        .size:           4
        .value_kind:     by_value
      - .actual_access:  read_only
        .address_space:  global
        .offset:         72
        .size:           8
        .value_kind:     global_buffer
      - .offset:         80
        .size:           8
        .value_kind:     by_value
      - .offset:         88
        .size:           8
        .value_kind:     by_value
      - .offset:         96
        .size:           8
        .value_kind:     by_value
      - .address_space:  global
        .offset:         104
        .size:           8
        .value_kind:     global_buffer
      - .offset:         112
        .size:           8
        .value_kind:     by_value
      - .offset:         120
        .size:           8
        .value_kind:     by_value
      - .offset:         128
        .size:           4
        .value_kind:     by_value
      - .offset:         132
        .size:           4
        .value_kind:     by_value
      - .offset:         136
        .size:           1
        .value_kind:     by_value
    .group_segment_fixed_size: 16384
    .kernarg_segment_align: 8
    .kernarg_segment_size: 140
    .language:       OpenCL C
    .language_version:
      - 2
      - 0
    .max_flat_workgroup_size: 1024
    .name:           _ZN9rocsparseL29bsrmm_general_blockdim_kernelILj32ELj32Eli21rocsparse_complex_numIfES2_S2_S2_EEvb20rocsparse_direction_T2_S4_llNS_24const_host_device_scalarIT6_EEPKT1_PKS4_PKT3_S4_PKT4_llS7_PT5_ll16rocsparse_order_21rocsparse_index_base_b
    .private_segment_fixed_size: 0
    .sgpr_count:     54
    .sgpr_spill_count: 0
    .symbol:         _ZN9rocsparseL29bsrmm_general_blockdim_kernelILj32ELj32Eli21rocsparse_complex_numIfES2_S2_S2_EEvb20rocsparse_direction_T2_S4_llNS_24const_host_device_scalarIT6_EEPKT1_PKS4_PKT3_S4_PKT4_llS7_PT5_ll16rocsparse_order_21rocsparse_index_base_b.kd
    .uniform_work_group_size: 1
    .uses_dynamic_stack: false
    .vgpr_count:     46
    .vgpr_spill_count: 0
    .wavefront_size: 64
  - .args:
      - .offset:         0
        .size:           1
        .value_kind:     by_value
      - .offset:         4
        .size:           4
        .value_kind:     by_value
      - .offset:         8
        .size:           8
        .value_kind:     by_value
      - .offset:         16
        .size:           8
        .value_kind:     by_value
      - .offset:         24
        .size:           8
        .value_kind:     by_value
      - .offset:         32
        .size:           8
        .value_kind:     by_value
      - .offset:         40
        .size:           8
        .value_kind:     by_value
      - .actual_access:  read_only
        .address_space:  global
        .offset:         48
        .size:           8
        .value_kind:     global_buffer
      - .actual_access:  read_only
        .address_space:  global
        .offset:         56
        .size:           8
        .value_kind:     global_buffer
      - .actual_access:  read_only
        .address_space:  global
        .offset:         64
        .size:           8
        .value_kind:     global_buffer
      - .offset:         72
        .size:           8
        .value_kind:     by_value
      - .actual_access:  read_only
        .address_space:  global
        .offset:         80
        .size:           8
        .value_kind:     global_buffer
      - .offset:         88
        .size:           8
        .value_kind:     by_value
      - .offset:         96
        .size:           8
        .value_kind:     by_value
      - .offset:         104
        .size:           8
        .value_kind:     by_value
      - .address_space:  global
        .offset:         112
        .size:           8
        .value_kind:     global_buffer
      - .offset:         120
        .size:           8
        .value_kind:     by_value
      - .offset:         128
        .size:           8
        .value_kind:     by_value
      - .offset:         136
        .size:           4
        .value_kind:     by_value
      - .offset:         140
        .size:           4
        .value_kind:     by_value
      - .offset:         144
        .size:           1
        .value_kind:     by_value
    .group_segment_fixed_size: 16384
    .kernarg_segment_align: 8
    .kernarg_segment_size: 148
    .language:       OpenCL C
    .language_version:
      - 2
      - 0
    .max_flat_workgroup_size: 1024
    .name:           _ZN9rocsparseL29bsrmm_general_blockdim_kernelILj32ELj32Ell21rocsparse_complex_numIfES2_S2_S2_EEvb20rocsparse_direction_T2_S4_llNS_24const_host_device_scalarIT6_EEPKT1_PKS4_PKT3_S4_PKT4_llS7_PT5_ll16rocsparse_order_21rocsparse_index_base_b
    .private_segment_fixed_size: 0
    .sgpr_count:     64
    .sgpr_spill_count: 0
    .symbol:         _ZN9rocsparseL29bsrmm_general_blockdim_kernelILj32ELj32Ell21rocsparse_complex_numIfES2_S2_S2_EEvb20rocsparse_direction_T2_S4_llNS_24const_host_device_scalarIT6_EEPKT1_PKS4_PKT3_S4_PKT4_llS7_PT5_ll16rocsparse_order_21rocsparse_index_base_b.kd
    .uniform_work_group_size: 1
    .uses_dynamic_stack: false
    .vgpr_count:     58
    .vgpr_spill_count: 0
    .wavefront_size: 64
  - .args:
      - .offset:         0
        .size:           1
        .value_kind:     by_value
      - .offset:         4
        .size:           4
        .value_kind:     by_value
      - .offset:         8
        .size:           4
        .value_kind:     by_value
      - .offset:         12
        .size:           4
        .value_kind:     by_value
      - .offset:         16
        .size:           8
        .value_kind:     by_value
      - .offset:         24
        .size:           8
        .value_kind:     by_value
      - .offset:         32
        .size:           16
        .value_kind:     by_value
      - .actual_access:  read_only
        .address_space:  global
        .offset:         48
        .size:           8
        .value_kind:     global_buffer
      - .actual_access:  read_only
        .address_space:  global
        .offset:         56
        .size:           8
        .value_kind:     global_buffer
      - .actual_access:  read_only
        .address_space:  global
        .offset:         64
        .size:           8
        .value_kind:     global_buffer
      - .offset:         72
        .size:           4
        .value_kind:     by_value
      - .actual_access:  read_only
        .address_space:  global
        .offset:         80
        .size:           8
        .value_kind:     global_buffer
      - .offset:         88
        .size:           8
        .value_kind:     by_value
      - .offset:         96
        .size:           8
        .value_kind:     by_value
      - .offset:         104
        .size:           16
        .value_kind:     by_value
      - .address_space:  global
        .offset:         120
        .size:           8
        .value_kind:     global_buffer
      - .offset:         128
        .size:           8
        .value_kind:     by_value
      - .offset:         136
        .size:           8
        .value_kind:     by_value
      - .offset:         144
        .size:           4
        .value_kind:     by_value
      - .offset:         148
        .size:           4
        .value_kind:     by_value
      - .offset:         152
        .size:           1
        .value_kind:     by_value
    .group_segment_fixed_size: 32768
    .kernarg_segment_align: 8
    .kernarg_segment_size: 156
    .language:       OpenCL C
    .language_version:
      - 2
      - 0
    .max_flat_workgroup_size: 1024
    .name:           _ZN9rocsparseL29bsrmm_general_blockdim_kernelILj32ELj32Eii21rocsparse_complex_numIdES2_S2_S2_EEvb20rocsparse_direction_T2_S4_llNS_24const_host_device_scalarIT6_EEPKT1_PKS4_PKT3_S4_PKT4_llS7_PT5_ll16rocsparse_order_21rocsparse_index_base_b
    .private_segment_fixed_size: 0
    .sgpr_count:     50
    .sgpr_spill_count: 0
    .symbol:         _ZN9rocsparseL29bsrmm_general_blockdim_kernelILj32ELj32Eii21rocsparse_complex_numIdES2_S2_S2_EEvb20rocsparse_direction_T2_S4_llNS_24const_host_device_scalarIT6_EEPKT1_PKS4_PKT3_S4_PKT4_llS7_PT5_ll16rocsparse_order_21rocsparse_index_base_b.kd
    .uniform_work_group_size: 1
    .uses_dynamic_stack: false
    .vgpr_count:     47
    .vgpr_spill_count: 0
    .wavefront_size: 64
  - .args:
      - .offset:         0
        .size:           1
        .value_kind:     by_value
      - .offset:         4
        .size:           4
        .value_kind:     by_value
      - .offset:         8
        .size:           4
        .value_kind:     by_value
      - .offset:         12
        .size:           4
        .value_kind:     by_value
      - .offset:         16
        .size:           8
        .value_kind:     by_value
      - .offset:         24
        .size:           8
        .value_kind:     by_value
      - .offset:         32
        .size:           16
        .value_kind:     by_value
      - .actual_access:  read_only
        .address_space:  global
        .offset:         48
        .size:           8
        .value_kind:     global_buffer
      - .actual_access:  read_only
        .address_space:  global
        .offset:         56
        .size:           8
        .value_kind:     global_buffer
      - .actual_access:  read_only
        .address_space:  global
        .offset:         64
        .size:           8
        .value_kind:     global_buffer
      - .offset:         72
        .size:           4
        .value_kind:     by_value
      - .actual_access:  read_only
        .address_space:  global
        .offset:         80
        .size:           8
        .value_kind:     global_buffer
      - .offset:         88
        .size:           8
        .value_kind:     by_value
      - .offset:         96
        .size:           8
        .value_kind:     by_value
      - .offset:         104
        .size:           16
        .value_kind:     by_value
      - .address_space:  global
        .offset:         120
        .size:           8
        .value_kind:     global_buffer
      - .offset:         128
        .size:           8
        .value_kind:     by_value
      - .offset:         136
        .size:           8
        .value_kind:     by_value
      - .offset:         144
        .size:           4
        .value_kind:     by_value
      - .offset:         148
        .size:           4
        .value_kind:     by_value
      - .offset:         152
        .size:           1
        .value_kind:     by_value
    .group_segment_fixed_size: 32768
    .kernarg_segment_align: 8
    .kernarg_segment_size: 156
    .language:       OpenCL C
    .language_version:
      - 2
      - 0
    .max_flat_workgroup_size: 1024
    .name:           _ZN9rocsparseL29bsrmm_general_blockdim_kernelILj32ELj32Eli21rocsparse_complex_numIdES2_S2_S2_EEvb20rocsparse_direction_T2_S4_llNS_24const_host_device_scalarIT6_EEPKT1_PKS4_PKT3_S4_PKT4_llS7_PT5_ll16rocsparse_order_21rocsparse_index_base_b
    .private_segment_fixed_size: 0
    .sgpr_count:     54
    .sgpr_spill_count: 0
    .symbol:         _ZN9rocsparseL29bsrmm_general_blockdim_kernelILj32ELj32Eli21rocsparse_complex_numIdES2_S2_S2_EEvb20rocsparse_direction_T2_S4_llNS_24const_host_device_scalarIT6_EEPKT1_PKS4_PKT3_S4_PKT4_llS7_PT5_ll16rocsparse_order_21rocsparse_index_base_b.kd
    .uniform_work_group_size: 1
    .uses_dynamic_stack: false
    .vgpr_count:     47
    .vgpr_spill_count: 0
    .wavefront_size: 64
  - .args:
      - .offset:         0
        .size:           1
        .value_kind:     by_value
      - .offset:         4
        .size:           4
        .value_kind:     by_value
      - .offset:         8
        .size:           8
        .value_kind:     by_value
      - .offset:         16
        .size:           8
        .value_kind:     by_value
      - .offset:         24
        .size:           8
        .value_kind:     by_value
      - .offset:         32
        .size:           8
        .value_kind:     by_value
      - .offset:         40
        .size:           16
        .value_kind:     by_value
      - .actual_access:  read_only
        .address_space:  global
        .offset:         56
        .size:           8
        .value_kind:     global_buffer
      - .actual_access:  read_only
        .address_space:  global
        .offset:         64
        .size:           8
        .value_kind:     global_buffer
      - .actual_access:  read_only
        .address_space:  global
        .offset:         72
        .size:           8
        .value_kind:     global_buffer
      - .offset:         80
        .size:           8
        .value_kind:     by_value
      - .actual_access:  read_only
        .address_space:  global
        .offset:         88
        .size:           8
        .value_kind:     global_buffer
      - .offset:         96
        .size:           8
        .value_kind:     by_value
      - .offset:         104
        .size:           8
        .value_kind:     by_value
      - .offset:         112
        .size:           16
        .value_kind:     by_value
      - .address_space:  global
        .offset:         128
        .size:           8
        .value_kind:     global_buffer
      - .offset:         136
        .size:           8
        .value_kind:     by_value
      - .offset:         144
        .size:           8
        .value_kind:     by_value
      - .offset:         152
        .size:           4
        .value_kind:     by_value
      - .offset:         156
        .size:           4
        .value_kind:     by_value
      - .offset:         160
        .size:           1
        .value_kind:     by_value
    .group_segment_fixed_size: 32768
    .kernarg_segment_align: 8
    .kernarg_segment_size: 164
    .language:       OpenCL C
    .language_version:
      - 2
      - 0
    .max_flat_workgroup_size: 1024
    .name:           _ZN9rocsparseL29bsrmm_general_blockdim_kernelILj32ELj32Ell21rocsparse_complex_numIdES2_S2_S2_EEvb20rocsparse_direction_T2_S4_llNS_24const_host_device_scalarIT6_EEPKT1_PKS4_PKT3_S4_PKT4_llS7_PT5_ll16rocsparse_order_21rocsparse_index_base_b
    .private_segment_fixed_size: 0
    .sgpr_count:     64
    .sgpr_spill_count: 0
    .symbol:         _ZN9rocsparseL29bsrmm_general_blockdim_kernelILj32ELj32Ell21rocsparse_complex_numIdES2_S2_S2_EEvb20rocsparse_direction_T2_S4_llNS_24const_host_device_scalarIT6_EEPKT1_PKS4_PKT3_S4_PKT4_llS7_PT5_ll16rocsparse_order_21rocsparse_index_base_b.kd
    .uniform_work_group_size: 1
    .uses_dynamic_stack: false
    .vgpr_count:     58
    .vgpr_spill_count: 0
    .wavefront_size: 64
  - .args:
      - .offset:         0
        .size:           1
        .value_kind:     by_value
      - .offset:         4
        .size:           4
        .value_kind:     by_value
      - .offset:         8
        .size:           4
        .value_kind:     by_value
      - .offset:         12
        .size:           4
        .value_kind:     by_value
      - .offset:         16
        .size:           8
        .value_kind:     by_value
      - .offset:         24
        .size:           8
        .value_kind:     by_value
      - .offset:         32
        .size:           8
        .value_kind:     by_value
      - .actual_access:  read_only
        .address_space:  global
        .offset:         40
        .size:           8
        .value_kind:     global_buffer
      - .actual_access:  read_only
        .address_space:  global
        .offset:         48
        .size:           8
        .value_kind:     global_buffer
      - .actual_access:  read_only
        .address_space:  global
        .offset:         56
        .size:           8
        .value_kind:     global_buffer
      - .offset:         64
        .size:           4
        .value_kind:     by_value
      - .actual_access:  read_only
        .address_space:  global
        .offset:         72
        .size:           8
        .value_kind:     global_buffer
      - .offset:         80
        .size:           8
        .value_kind:     by_value
      - .offset:         88
        .size:           8
        .value_kind:     by_value
      - .offset:         96
        .size:           8
        .value_kind:     by_value
      - .address_space:  global
        .offset:         104
        .size:           8
        .value_kind:     global_buffer
      - .offset:         112
        .size:           8
        .value_kind:     by_value
      - .offset:         120
        .size:           8
        .value_kind:     by_value
      - .offset:         128
        .size:           4
        .value_kind:     by_value
      - .offset:         132
        .size:           4
        .value_kind:     by_value
      - .offset:         136
        .size:           1
        .value_kind:     by_value
    .group_segment_fixed_size: 8192
    .kernarg_segment_align: 8
    .kernarg_segment_size: 140
    .language:       OpenCL C
    .language_version:
      - 2
      - 0
    .max_flat_workgroup_size: 1024
    .name:           _ZN9rocsparseL29bsrmm_general_blockdim_kernelILj32ELj32EiiDF16_DF16_ffEEvb20rocsparse_direction_T2_S2_llNS_24const_host_device_scalarIT6_EEPKT1_PKS2_PKT3_S2_PKT4_llS5_PT5_ll16rocsparse_order_21rocsparse_index_base_b
    .private_segment_fixed_size: 0
    .sgpr_count:     52
    .sgpr_spill_count: 0
    .symbol:         _ZN9rocsparseL29bsrmm_general_blockdim_kernelILj32ELj32EiiDF16_DF16_ffEEvb20rocsparse_direction_T2_S2_llNS_24const_host_device_scalarIT6_EEPKT1_PKS2_PKT3_S2_PKT4_llS5_PT5_ll16rocsparse_order_21rocsparse_index_base_b.kd
    .uniform_work_group_size: 1
    .uses_dynamic_stack: false
    .vgpr_count:     40
    .vgpr_spill_count: 0
    .wavefront_size: 64
  - .args:
      - .offset:         0
        .size:           1
        .value_kind:     by_value
      - .offset:         4
        .size:           4
        .value_kind:     by_value
      - .offset:         8
        .size:           4
        .value_kind:     by_value
      - .offset:         12
        .size:           4
        .value_kind:     by_value
      - .offset:         16
        .size:           8
        .value_kind:     by_value
      - .offset:         24
        .size:           8
        .value_kind:     by_value
      - .offset:         32
        .size:           8
        .value_kind:     by_value
      - .actual_access:  read_only
        .address_space:  global
        .offset:         40
        .size:           8
        .value_kind:     global_buffer
      - .actual_access:  read_only
        .address_space:  global
        .offset:         48
        .size:           8
        .value_kind:     global_buffer
      - .actual_access:  read_only
        .address_space:  global
        .offset:         56
        .size:           8
        .value_kind:     global_buffer
      - .offset:         64
        .size:           4
        .value_kind:     by_value
      - .actual_access:  read_only
        .address_space:  global
        .offset:         72
        .size:           8
        .value_kind:     global_buffer
      - .offset:         80
        .size:           8
        .value_kind:     by_value
      - .offset:         88
        .size:           8
        .value_kind:     by_value
      - .offset:         96
        .size:           8
        .value_kind:     by_value
      - .address_space:  global
        .offset:         104
        .size:           8
        .value_kind:     global_buffer
      - .offset:         112
        .size:           8
        .value_kind:     by_value
      - .offset:         120
        .size:           8
        .value_kind:     by_value
      - .offset:         128
        .size:           4
        .value_kind:     by_value
      - .offset:         132
        .size:           4
        .value_kind:     by_value
      - .offset:         136
        .size:           1
        .value_kind:     by_value
    .group_segment_fixed_size: 8192
    .kernarg_segment_align: 8
    .kernarg_segment_size: 140
    .language:       OpenCL C
    .language_version:
      - 2
      - 0
    .max_flat_workgroup_size: 1024
    .name:           _ZN9rocsparseL29bsrmm_general_blockdim_kernelILj32ELj32EliDF16_DF16_ffEEvb20rocsparse_direction_T2_S2_llNS_24const_host_device_scalarIT6_EEPKT1_PKS2_PKT3_S2_PKT4_llS5_PT5_ll16rocsparse_order_21rocsparse_index_base_b
    .private_segment_fixed_size: 0
    .sgpr_count:     53
    .sgpr_spill_count: 0
    .symbol:         _ZN9rocsparseL29bsrmm_general_blockdim_kernelILj32ELj32EliDF16_DF16_ffEEvb20rocsparse_direction_T2_S2_llNS_24const_host_device_scalarIT6_EEPKT1_PKS2_PKT3_S2_PKT4_llS5_PT5_ll16rocsparse_order_21rocsparse_index_base_b.kd
    .uniform_work_group_size: 1
    .uses_dynamic_stack: false
    .vgpr_count:     39
    .vgpr_spill_count: 0
    .wavefront_size: 64
  - .args:
      - .offset:         0
        .size:           1
        .value_kind:     by_value
      - .offset:         4
        .size:           4
        .value_kind:     by_value
      - .offset:         8
        .size:           8
        .value_kind:     by_value
      - .offset:         16
        .size:           8
        .value_kind:     by_value
      - .offset:         24
        .size:           8
        .value_kind:     by_value
      - .offset:         32
        .size:           8
        .value_kind:     by_value
      - .offset:         40
        .size:           8
        .value_kind:     by_value
      - .actual_access:  read_only
        .address_space:  global
        .offset:         48
        .size:           8
        .value_kind:     global_buffer
      - .actual_access:  read_only
        .address_space:  global
        .offset:         56
        .size:           8
        .value_kind:     global_buffer
      - .actual_access:  read_only
        .address_space:  global
        .offset:         64
        .size:           8
        .value_kind:     global_buffer
      - .offset:         72
        .size:           8
        .value_kind:     by_value
      - .actual_access:  read_only
        .address_space:  global
        .offset:         80
        .size:           8
        .value_kind:     global_buffer
      - .offset:         88
        .size:           8
        .value_kind:     by_value
      - .offset:         96
        .size:           8
        .value_kind:     by_value
      - .offset:         104
        .size:           8
        .value_kind:     by_value
      - .address_space:  global
        .offset:         112
        .size:           8
        .value_kind:     global_buffer
      - .offset:         120
        .size:           8
        .value_kind:     by_value
      - .offset:         128
        .size:           8
        .value_kind:     by_value
      - .offset:         136
        .size:           4
        .value_kind:     by_value
      - .offset:         140
        .size:           4
        .value_kind:     by_value
      - .offset:         144
        .size:           1
        .value_kind:     by_value
    .group_segment_fixed_size: 8192
    .kernarg_segment_align: 8
    .kernarg_segment_size: 148
    .language:       OpenCL C
    .language_version:
      - 2
      - 0
    .max_flat_workgroup_size: 1024
    .name:           _ZN9rocsparseL29bsrmm_general_blockdim_kernelILj32ELj32EllDF16_DF16_ffEEvb20rocsparse_direction_T2_S2_llNS_24const_host_device_scalarIT6_EEPKT1_PKS2_PKT3_S2_PKT4_llS5_PT5_ll16rocsparse_order_21rocsparse_index_base_b
    .private_segment_fixed_size: 0
    .sgpr_count:     56
    .sgpr_spill_count: 0
    .symbol:         _ZN9rocsparseL29bsrmm_general_blockdim_kernelILj32ELj32EllDF16_DF16_ffEEvb20rocsparse_direction_T2_S2_llNS_24const_host_device_scalarIT6_EEPKT1_PKS2_PKT3_S2_PKT4_llS5_PT5_ll16rocsparse_order_21rocsparse_index_base_b.kd
    .uniform_work_group_size: 1
    .uses_dynamic_stack: false
    .vgpr_count:     55
    .vgpr_spill_count: 0
    .wavefront_size: 64
  - .args:
      - .offset:         0
        .size:           1
        .value_kind:     by_value
      - .offset:         4
        .size:           4
        .value_kind:     by_value
      - .offset:         8
        .size:           4
        .value_kind:     by_value
      - .offset:         12
        .size:           4
        .value_kind:     by_value
      - .offset:         16
        .size:           8
        .value_kind:     by_value
      - .offset:         24
        .size:           8
        .value_kind:     by_value
      - .offset:         32
        .size:           8
        .value_kind:     by_value
      - .actual_access:  read_only
        .address_space:  global
        .offset:         40
        .size:           8
        .value_kind:     global_buffer
      - .actual_access:  read_only
        .address_space:  global
        .offset:         48
        .size:           8
        .value_kind:     global_buffer
      - .actual_access:  read_only
        .address_space:  global
        .offset:         56
        .size:           8
        .value_kind:     global_buffer
      - .offset:         64
        .size:           4
        .value_kind:     by_value
      - .actual_access:  read_only
        .address_space:  global
        .offset:         72
        .size:           8
        .value_kind:     global_buffer
      - .offset:         80
        .size:           8
        .value_kind:     by_value
      - .offset:         88
        .size:           8
        .value_kind:     by_value
      - .offset:         96
        .size:           8
        .value_kind:     by_value
      - .address_space:  global
        .offset:         104
        .size:           8
        .value_kind:     global_buffer
      - .offset:         112
        .size:           8
        .value_kind:     by_value
      - .offset:         120
        .size:           8
        .value_kind:     by_value
      - .offset:         128
        .size:           4
        .value_kind:     by_value
      - .offset:         132
        .size:           4
        .value_kind:     by_value
      - .offset:         136
        .size:           1
        .value_kind:     by_value
    .group_segment_fixed_size: 8192
    .kernarg_segment_align: 8
    .kernarg_segment_size: 140
    .language:       OpenCL C
    .language_version:
      - 2
      - 0
    .max_flat_workgroup_size: 1024
    .name:           _ZN9rocsparseL29bsrmm_general_blockdim_kernelILj32ELj32EiiaaiiEEvb20rocsparse_direction_T2_S2_llNS_24const_host_device_scalarIT6_EEPKT1_PKS2_PKT3_S2_PKT4_llS5_PT5_ll16rocsparse_order_21rocsparse_index_base_b
    .private_segment_fixed_size: 0
    .sgpr_count:     52
    .sgpr_spill_count: 0
    .symbol:         _ZN9rocsparseL29bsrmm_general_blockdim_kernelILj32ELj32EiiaaiiEEvb20rocsparse_direction_T2_S2_llNS_24const_host_device_scalarIT6_EEPKT1_PKS2_PKT3_S2_PKT4_llS5_PT5_ll16rocsparse_order_21rocsparse_index_base_b.kd
    .uniform_work_group_size: 1
    .uses_dynamic_stack: false
    .vgpr_count:     38
    .vgpr_spill_count: 0
    .wavefront_size: 64
  - .args:
      - .offset:         0
        .size:           1
        .value_kind:     by_value
      - .offset:         4
        .size:           4
        .value_kind:     by_value
      - .offset:         8
        .size:           4
        .value_kind:     by_value
      - .offset:         12
        .size:           4
        .value_kind:     by_value
      - .offset:         16
        .size:           8
        .value_kind:     by_value
      - .offset:         24
        .size:           8
        .value_kind:     by_value
      - .offset:         32
        .size:           8
        .value_kind:     by_value
      - .actual_access:  read_only
        .address_space:  global
        .offset:         40
        .size:           8
        .value_kind:     global_buffer
      - .actual_access:  read_only
        .address_space:  global
        .offset:         48
        .size:           8
        .value_kind:     global_buffer
      - .actual_access:  read_only
        .address_space:  global
        .offset:         56
        .size:           8
        .value_kind:     global_buffer
      - .offset:         64
        .size:           4
        .value_kind:     by_value
      - .actual_access:  read_only
        .address_space:  global
        .offset:         72
        .size:           8
        .value_kind:     global_buffer
      - .offset:         80
        .size:           8
        .value_kind:     by_value
      - .offset:         88
        .size:           8
        .value_kind:     by_value
      - .offset:         96
        .size:           8
        .value_kind:     by_value
      - .address_space:  global
        .offset:         104
        .size:           8
        .value_kind:     global_buffer
      - .offset:         112
        .size:           8
        .value_kind:     by_value
      - .offset:         120
        .size:           8
        .value_kind:     by_value
      - .offset:         128
        .size:           4
        .value_kind:     by_value
      - .offset:         132
        .size:           4
        .value_kind:     by_value
      - .offset:         136
        .size:           1
        .value_kind:     by_value
    .group_segment_fixed_size: 8192
    .kernarg_segment_align: 8
    .kernarg_segment_size: 140
    .language:       OpenCL C
    .language_version:
      - 2
      - 0
    .max_flat_workgroup_size: 1024
    .name:           _ZN9rocsparseL29bsrmm_general_blockdim_kernelILj32ELj32EliaaiiEEvb20rocsparse_direction_T2_S2_llNS_24const_host_device_scalarIT6_EEPKT1_PKS2_PKT3_S2_PKT4_llS5_PT5_ll16rocsparse_order_21rocsparse_index_base_b
    .private_segment_fixed_size: 0
    .sgpr_count:     53
    .sgpr_spill_count: 0
    .symbol:         _ZN9rocsparseL29bsrmm_general_blockdim_kernelILj32ELj32EliaaiiEEvb20rocsparse_direction_T2_S2_llNS_24const_host_device_scalarIT6_EEPKT1_PKS2_PKT3_S2_PKT4_llS5_PT5_ll16rocsparse_order_21rocsparse_index_base_b.kd
    .uniform_work_group_size: 1
    .uses_dynamic_stack: false
    .vgpr_count:     39
    .vgpr_spill_count: 0
    .wavefront_size: 64
  - .args:
      - .offset:         0
        .size:           1
        .value_kind:     by_value
      - .offset:         4
        .size:           4
        .value_kind:     by_value
      - .offset:         8
        .size:           8
        .value_kind:     by_value
      - .offset:         16
        .size:           8
        .value_kind:     by_value
      - .offset:         24
        .size:           8
        .value_kind:     by_value
      - .offset:         32
        .size:           8
        .value_kind:     by_value
      - .offset:         40
        .size:           8
        .value_kind:     by_value
      - .actual_access:  read_only
        .address_space:  global
        .offset:         48
        .size:           8
        .value_kind:     global_buffer
      - .actual_access:  read_only
        .address_space:  global
        .offset:         56
        .size:           8
        .value_kind:     global_buffer
      - .actual_access:  read_only
        .address_space:  global
        .offset:         64
        .size:           8
        .value_kind:     global_buffer
      - .offset:         72
        .size:           8
        .value_kind:     by_value
      - .actual_access:  read_only
        .address_space:  global
        .offset:         80
        .size:           8
        .value_kind:     global_buffer
      - .offset:         88
        .size:           8
        .value_kind:     by_value
      - .offset:         96
        .size:           8
        .value_kind:     by_value
      - .offset:         104
        .size:           8
        .value_kind:     by_value
      - .address_space:  global
        .offset:         112
        .size:           8
        .value_kind:     global_buffer
      - .offset:         120
        .size:           8
        .value_kind:     by_value
      - .offset:         128
        .size:           8
        .value_kind:     by_value
      - .offset:         136
        .size:           4
        .value_kind:     by_value
      - .offset:         140
        .size:           4
        .value_kind:     by_value
      - .offset:         144
        .size:           1
        .value_kind:     by_value
    .group_segment_fixed_size: 8192
    .kernarg_segment_align: 8
    .kernarg_segment_size: 148
    .language:       OpenCL C
    .language_version:
      - 2
      - 0
    .max_flat_workgroup_size: 1024
    .name:           _ZN9rocsparseL29bsrmm_general_blockdim_kernelILj32ELj32EllaaiiEEvb20rocsparse_direction_T2_S2_llNS_24const_host_device_scalarIT6_EEPKT1_PKS2_PKT3_S2_PKT4_llS5_PT5_ll16rocsparse_order_21rocsparse_index_base_b
    .private_segment_fixed_size: 0
    .sgpr_count:     54
    .sgpr_spill_count: 0
    .symbol:         _ZN9rocsparseL29bsrmm_general_blockdim_kernelILj32ELj32EllaaiiEEvb20rocsparse_direction_T2_S2_llNS_24const_host_device_scalarIT6_EEPKT1_PKS2_PKT3_S2_PKT4_llS5_PT5_ll16rocsparse_order_21rocsparse_index_base_b.kd
    .uniform_work_group_size: 1
    .uses_dynamic_stack: false
    .vgpr_count:     54
    .vgpr_spill_count: 0
    .wavefront_size: 64
  - .args:
      - .offset:         0
        .size:           1
        .value_kind:     by_value
      - .offset:         4
        .size:           4
        .value_kind:     by_value
      - .offset:         8
        .size:           4
        .value_kind:     by_value
      - .offset:         12
        .size:           4
        .value_kind:     by_value
      - .offset:         16
        .size:           8
        .value_kind:     by_value
      - .offset:         24
        .size:           8
        .value_kind:     by_value
      - .offset:         32
        .size:           8
        .value_kind:     by_value
      - .actual_access:  read_only
        .address_space:  global
        .offset:         40
        .size:           8
        .value_kind:     global_buffer
      - .actual_access:  read_only
        .address_space:  global
        .offset:         48
        .size:           8
        .value_kind:     global_buffer
      - .actual_access:  read_only
        .address_space:  global
        .offset:         56
        .size:           8
        .value_kind:     global_buffer
      - .offset:         64
        .size:           4
        .value_kind:     by_value
      - .actual_access:  read_only
        .address_space:  global
        .offset:         72
        .size:           8
        .value_kind:     global_buffer
      - .offset:         80
        .size:           8
        .value_kind:     by_value
      - .offset:         88
        .size:           8
        .value_kind:     by_value
      - .offset:         96
        .size:           8
        .value_kind:     by_value
      - .address_space:  global
        .offset:         104
        .size:           8
        .value_kind:     global_buffer
      - .offset:         112
        .size:           8
        .value_kind:     by_value
      - .offset:         120
        .size:           8
        .value_kind:     by_value
      - .offset:         128
        .size:           4
        .value_kind:     by_value
      - .offset:         132
        .size:           4
        .value_kind:     by_value
      - .offset:         136
        .size:           1
        .value_kind:     by_value
    .group_segment_fixed_size: 8192
    .kernarg_segment_align: 8
    .kernarg_segment_size: 140
    .language:       OpenCL C
    .language_version:
      - 2
      - 0
    .max_flat_workgroup_size: 1024
    .name:           _ZN9rocsparseL29bsrmm_general_blockdim_kernelILj32ELj32EiiaaffEEvb20rocsparse_direction_T2_S2_llNS_24const_host_device_scalarIT6_EEPKT1_PKS2_PKT3_S2_PKT4_llS5_PT5_ll16rocsparse_order_21rocsparse_index_base_b
    .private_segment_fixed_size: 0
    .sgpr_count:     52
    .sgpr_spill_count: 0
    .symbol:         _ZN9rocsparseL29bsrmm_general_blockdim_kernelILj32ELj32EiiaaffEEvb20rocsparse_direction_T2_S2_llNS_24const_host_device_scalarIT6_EEPKT1_PKS2_PKT3_S2_PKT4_llS5_PT5_ll16rocsparse_order_21rocsparse_index_base_b.kd
    .uniform_work_group_size: 1
    .uses_dynamic_stack: false
    .vgpr_count:     40
    .vgpr_spill_count: 0
    .wavefront_size: 64
  - .args:
      - .offset:         0
        .size:           1
        .value_kind:     by_value
      - .offset:         4
        .size:           4
        .value_kind:     by_value
      - .offset:         8
        .size:           4
        .value_kind:     by_value
      - .offset:         12
        .size:           4
        .value_kind:     by_value
      - .offset:         16
        .size:           8
        .value_kind:     by_value
      - .offset:         24
        .size:           8
        .value_kind:     by_value
      - .offset:         32
        .size:           8
        .value_kind:     by_value
      - .actual_access:  read_only
        .address_space:  global
        .offset:         40
        .size:           8
        .value_kind:     global_buffer
      - .actual_access:  read_only
        .address_space:  global
        .offset:         48
        .size:           8
        .value_kind:     global_buffer
      - .actual_access:  read_only
        .address_space:  global
        .offset:         56
        .size:           8
        .value_kind:     global_buffer
      - .offset:         64
        .size:           4
        .value_kind:     by_value
      - .actual_access:  read_only
        .address_space:  global
        .offset:         72
        .size:           8
        .value_kind:     global_buffer
      - .offset:         80
        .size:           8
        .value_kind:     by_value
      - .offset:         88
        .size:           8
        .value_kind:     by_value
      - .offset:         96
        .size:           8
        .value_kind:     by_value
      - .address_space:  global
        .offset:         104
        .size:           8
        .value_kind:     global_buffer
      - .offset:         112
        .size:           8
        .value_kind:     by_value
      - .offset:         120
        .size:           8
        .value_kind:     by_value
      - .offset:         128
        .size:           4
        .value_kind:     by_value
      - .offset:         132
        .size:           4
        .value_kind:     by_value
      - .offset:         136
        .size:           1
        .value_kind:     by_value
    .group_segment_fixed_size: 8192
    .kernarg_segment_align: 8
    .kernarg_segment_size: 140
    .language:       OpenCL C
    .language_version:
      - 2
      - 0
    .max_flat_workgroup_size: 1024
    .name:           _ZN9rocsparseL29bsrmm_general_blockdim_kernelILj32ELj32EliaaffEEvb20rocsparse_direction_T2_S2_llNS_24const_host_device_scalarIT6_EEPKT1_PKS2_PKT3_S2_PKT4_llS5_PT5_ll16rocsparse_order_21rocsparse_index_base_b
    .private_segment_fixed_size: 0
    .sgpr_count:     53
    .sgpr_spill_count: 0
    .symbol:         _ZN9rocsparseL29bsrmm_general_blockdim_kernelILj32ELj32EliaaffEEvb20rocsparse_direction_T2_S2_llNS_24const_host_device_scalarIT6_EEPKT1_PKS2_PKT3_S2_PKT4_llS5_PT5_ll16rocsparse_order_21rocsparse_index_base_b.kd
    .uniform_work_group_size: 1
    .uses_dynamic_stack: false
    .vgpr_count:     38
    .vgpr_spill_count: 0
    .wavefront_size: 64
  - .args:
      - .offset:         0
        .size:           1
        .value_kind:     by_value
      - .offset:         4
        .size:           4
        .value_kind:     by_value
      - .offset:         8
        .size:           8
        .value_kind:     by_value
      - .offset:         16
        .size:           8
        .value_kind:     by_value
      - .offset:         24
        .size:           8
        .value_kind:     by_value
      - .offset:         32
        .size:           8
        .value_kind:     by_value
      - .offset:         40
        .size:           8
        .value_kind:     by_value
      - .actual_access:  read_only
        .address_space:  global
        .offset:         48
        .size:           8
        .value_kind:     global_buffer
      - .actual_access:  read_only
        .address_space:  global
        .offset:         56
        .size:           8
        .value_kind:     global_buffer
      - .actual_access:  read_only
        .address_space:  global
        .offset:         64
        .size:           8
        .value_kind:     global_buffer
      - .offset:         72
        .size:           8
        .value_kind:     by_value
      - .actual_access:  read_only
        .address_space:  global
        .offset:         80
        .size:           8
        .value_kind:     global_buffer
      - .offset:         88
        .size:           8
        .value_kind:     by_value
      - .offset:         96
        .size:           8
        .value_kind:     by_value
      - .offset:         104
        .size:           8
        .value_kind:     by_value
      - .address_space:  global
        .offset:         112
        .size:           8
        .value_kind:     global_buffer
      - .offset:         120
        .size:           8
        .value_kind:     by_value
      - .offset:         128
        .size:           8
        .value_kind:     by_value
      - .offset:         136
        .size:           4
        .value_kind:     by_value
      - .offset:         140
        .size:           4
        .value_kind:     by_value
      - .offset:         144
        .size:           1
        .value_kind:     by_value
    .group_segment_fixed_size: 8192
    .kernarg_segment_align: 8
    .kernarg_segment_size: 148
    .language:       OpenCL C
    .language_version:
      - 2
      - 0
    .max_flat_workgroup_size: 1024
    .name:           _ZN9rocsparseL29bsrmm_general_blockdim_kernelILj32ELj32EllaaffEEvb20rocsparse_direction_T2_S2_llNS_24const_host_device_scalarIT6_EEPKT1_PKS2_PKT3_S2_PKT4_llS5_PT5_ll16rocsparse_order_21rocsparse_index_base_b
    .private_segment_fixed_size: 0
    .sgpr_count:     54
    .sgpr_spill_count: 0
    .symbol:         _ZN9rocsparseL29bsrmm_general_blockdim_kernelILj32ELj32EllaaffEEvb20rocsparse_direction_T2_S2_llNS_24const_host_device_scalarIT6_EEPKT1_PKS2_PKT3_S2_PKT4_llS5_PT5_ll16rocsparse_order_21rocsparse_index_base_b.kd
    .uniform_work_group_size: 1
    .uses_dynamic_stack: false
    .vgpr_count:     56
    .vgpr_spill_count: 0
    .wavefront_size: 64
amdhsa.target:   amdgcn-amd-amdhsa--gfx906
amdhsa.version:
  - 1
  - 2
...

	.end_amdgpu_metadata
